;; amdgpu-corpus repo=ROCm/rocFFT kind=compiled arch=gfx950 opt=O3
	.text
	.amdgcn_target "amdgcn-amd-amdhsa--gfx950"
	.amdhsa_code_object_version 6
	.protected	bluestein_single_back_len693_dim1_sp_op_CI_CI ; -- Begin function bluestein_single_back_len693_dim1_sp_op_CI_CI
	.globl	bluestein_single_back_len693_dim1_sp_op_CI_CI
	.p2align	8
	.type	bluestein_single_back_len693_dim1_sp_op_CI_CI,@function
bluestein_single_back_len693_dim1_sp_op_CI_CI: ; @bluestein_single_back_len693_dim1_sp_op_CI_CI
; %bb.0:
	s_load_dwordx4 s[12:15], s[0:1], 0x28
	v_mul_u32_u24_e32 v1, 0x296, v0
	v_add_u32_sdwa v52, s2, v1 dst_sel:DWORD dst_unused:UNUSED_PAD src0_sel:DWORD src1_sel:WORD_1
	v_mov_b32_e32 v53, 0
	s_waitcnt lgkmcnt(0)
	v_cmp_gt_u64_e32 vcc, s[12:13], v[52:53]
	s_and_saveexec_b64 s[2:3], vcc
	s_cbranch_execz .LBB0_23
; %bb.1:
	s_load_dwordx2 s[12:13], s[0:1], 0x0
	s_load_dwordx2 s[16:17], s[0:1], 0x38
	s_movk_i32 s2, 0x63
	v_mul_lo_u16_sdwa v1, v1, s2 dst_sel:DWORD dst_unused:UNUSED_PAD src0_sel:WORD_1 src1_sel:DWORD
	v_sub_u16_e32 v53, v0, v1
	v_cmp_gt_u16_e64 s[6:7], 63, v53
	v_lshlrev_b32_e32 v50, 3, v53
	s_and_saveexec_b64 s[2:3], s[6:7]
	s_cbranch_execz .LBB0_3
; %bb.2:
	s_load_dwordx2 s[4:5], s[0:1], 0x18
	v_mov_b32_e32 v0, s14
	v_mov_b32_e32 v1, s15
	;; [unrolled: 1-line block ×4, first 2 shown]
	s_waitcnt lgkmcnt(0)
	s_load_dwordx4 s[8:11], s[4:5], 0x0
	s_waitcnt lgkmcnt(0)
	v_mad_u64_u32 v[2:3], s[4:5], s10, v52, 0
	v_mad_u64_u32 v[4:5], s[4:5], s8, v53, 0
	v_mov_b32_e32 v6, v3
	v_mov_b32_e32 v8, v5
	v_mad_u64_u32 v[6:7], s[4:5], s11, v52, v[6:7]
	v_mov_b32_e32 v3, v6
	v_mad_u64_u32 v[6:7], s[4:5], s9, v53, v[8:9]
	v_mov_b32_e32 v5, v6
	v_lshl_add_u64 v[0:1], v[2:3], 3, v[0:1]
	v_lshl_add_u64 v[0:1], v[4:5], 3, v[0:1]
	global_load_dwordx2 v[2:3], v[0:1], off
	v_mad_u64_u32 v[0:1], s[4:5], s8, v44, v[0:1]
	s_mulk_i32 s9, 0x1f8
	v_add_u32_e32 v1, s9, v1
	v_mad_u64_u32 v[10:11], s[4:5], s8, v44, v[0:1]
	v_add_u32_e32 v11, s9, v11
	v_mad_u64_u32 v[12:13], s[4:5], s8, v44, v[10:11]
	;; [unrolled: 2-line block ×3, first 2 shown]
	v_add_u32_e32 v15, s9, v15
	global_load_dwordx2 v[6:7], v50, s[12:13]
	global_load_dwordx2 v[8:9], v50, s[12:13] offset:504
	v_lshl_add_u64 v[4:5], s[12:13], 0, v[50:51]
	global_load_dwordx2 v[0:1], v[0:1], off
	s_nop 0
	global_load_dwordx2 v[16:17], v[10:11], off
	global_load_dwordx2 v[18:19], v[12:13], off
	;; [unrolled: 1-line block ×3, first 2 shown]
	global_load_dwordx2 v[22:23], v50, s[12:13] offset:1008
	v_mad_u64_u32 v[10:11], s[4:5], s8, v44, v[14:15]
	v_add_u32_e32 v11, s9, v11
	global_load_dwordx2 v[12:13], v50, s[12:13] offset:1512
	global_load_dwordx2 v[14:15], v[10:11], off
	global_load_dwordx2 v[24:25], v50, s[12:13] offset:2016
	global_load_dwordx2 v[26:27], v50, s[12:13] offset:2520
	v_mad_u64_u32 v[10:11], s[4:5], s8, v44, v[10:11]
	v_add_u32_e32 v11, s9, v11
	global_load_dwordx2 v[28:29], v[10:11], off
	v_mad_u64_u32 v[10:11], s[4:5], s8, v44, v[10:11]
	v_add_u32_e32 v11, s9, v11
	global_load_dwordx2 v[30:31], v[10:11], off
	v_mad_u64_u32 v[10:11], s[4:5], s8, v44, v[10:11]
	v_add_u32_e32 v11, s9, v11
	global_load_dwordx2 v[32:33], v50, s[12:13] offset:3024
	global_load_dwordx2 v[34:35], v[10:11], off
	global_load_dwordx2 v[36:37], v50, s[12:13] offset:3528
	global_load_dwordx2 v[38:39], v50, s[12:13] offset:4032
	v_mad_u64_u32 v[10:11], s[4:5], s8, v44, v[10:11]
	s_movk_i32 s4, 0x1000
	s_nop 0
	v_add_co_u32_e32 v4, vcc, s4, v4
	v_add_u32_e32 v11, s9, v11
	s_nop 0
	v_addc_co_u32_e32 v5, vcc, 0, v5, vcc
	global_load_dwordx2 v[40:41], v[10:11], off
	global_load_dwordx2 v[42:43], v[4:5], off offset:440
	v_mad_u64_u32 v[10:11], s[4:5], s8, v44, v[10:11]
	v_add_u32_e32 v11, s9, v11
	global_load_dwordx2 v[44:45], v[4:5], off offset:944
	global_load_dwordx2 v[46:47], v[10:11], off
	v_add_u32_e32 v10, 0x400, v50
	s_waitcnt vmcnt(20)
	v_mul_f32_e32 v4, v3, v7
	v_mul_f32_e32 v5, v2, v7
	v_fmac_f32_e32 v4, v2, v6
	v_fma_f32 v5, v3, v6, -v5
	s_waitcnt vmcnt(18)
	v_mul_f32_e32 v2, v1, v9
	v_mul_f32_e32 v3, v0, v9
	v_fmac_f32_e32 v2, v0, v8
	v_fma_f32 v3, v1, v8, -v3
	ds_write2_b64 v50, v[4:5], v[2:3] offset1:63
	s_waitcnt vmcnt(14)
	v_mul_f32_e32 v0, v17, v23
	v_mul_f32_e32 v1, v16, v23
	s_waitcnt vmcnt(13)
	v_mul_f32_e32 v2, v19, v13
	v_mul_f32_e32 v3, v18, v13
	v_fmac_f32_e32 v0, v16, v22
	v_fma_f32 v1, v17, v22, -v1
	v_fmac_f32_e32 v2, v18, v12
	v_fma_f32 v3, v19, v12, -v3
	ds_write2_b64 v50, v[0:1], v[2:3] offset0:126 offset1:189
	s_waitcnt vmcnt(11)
	v_mul_f32_e32 v0, v21, v25
	v_mul_f32_e32 v1, v20, v25
	s_waitcnt vmcnt(10)
	v_mul_f32_e32 v2, v15, v27
	v_mul_f32_e32 v3, v14, v27
	v_fmac_f32_e32 v0, v20, v24
	v_fma_f32 v1, v21, v24, -v1
	v_fmac_f32_e32 v2, v14, v26
	v_fma_f32 v3, v15, v26, -v3
	ds_write2_b64 v10, v[0:1], v[2:3] offset0:124 offset1:187
	s_waitcnt vmcnt(7)
	v_mul_f32_e32 v0, v29, v33
	v_mul_f32_e32 v1, v28, v33
	s_waitcnt vmcnt(5)
	v_mul_f32_e32 v2, v31, v37
	v_mul_f32_e32 v3, v30, v37
	v_fmac_f32_e32 v0, v28, v32
	v_fma_f32 v1, v29, v32, -v1
	v_fmac_f32_e32 v2, v30, v36
	v_fma_f32 v3, v31, v36, -v3
	v_add_u32_e32 v4, 0x800, v50
	ds_write2_b64 v4, v[0:1], v[2:3] offset0:122 offset1:185
	s_waitcnt vmcnt(4)
	v_mul_f32_e32 v0, v35, v39
	v_mul_f32_e32 v1, v34, v39
	s_waitcnt vmcnt(2)
	v_mul_f32_e32 v2, v41, v43
	v_mul_f32_e32 v3, v40, v43
	v_fmac_f32_e32 v0, v34, v38
	v_fma_f32 v1, v35, v38, -v1
	v_fmac_f32_e32 v2, v40, v42
	v_fma_f32 v3, v41, v42, -v3
	v_add_u32_e32 v4, 0xc00, v50
	ds_write2_b64 v4, v[0:1], v[2:3] offset0:120 offset1:183
	s_waitcnt vmcnt(0)
	v_mul_f32_e32 v0, v47, v45
	v_mul_f32_e32 v1, v46, v45
	v_fmac_f32_e32 v0, v46, v44
	v_fma_f32 v1, v47, v44, -v1
	ds_write_b64 v50, v[0:1] offset:5040
.LBB0_3:
	s_or_b64 exec, exec, s[2:3]
	s_load_dwordx2 s[2:3], s[0:1], 0x20
	s_load_dwordx2 s[14:15], s[0:1], 0x8
	v_mov_b64_e32 v[0:1], 0
	s_waitcnt lgkmcnt(0)
	s_barrier
	s_waitcnt lgkmcnt(0)
                                        ; implicit-def: $vgpr8
                                        ; implicit-def: $vgpr6
                                        ; implicit-def: $vgpr16
                                        ; implicit-def: $vgpr14
                                        ; implicit-def: $vgpr22
	s_and_saveexec_b64 s[0:1], s[6:7]
	s_cbranch_execz .LBB0_5
; %bb.4:
	v_add_u32_e32 v4, 0x400, v50
	v_add_u32_e32 v8, 0x800, v50
	;; [unrolled: 1-line block ×3, first 2 shown]
	ds_read2_b64 v[0:3], v50 offset1:63
	ds_read2_b64 v[12:15], v50 offset0:126 offset1:189
	ds_read2_b64 v[4:7], v4 offset0:124 offset1:187
	;; [unrolled: 1-line block ×4, first 2 shown]
	ds_read_b64 v[22:23], v50 offset:5040
.LBB0_5:
	s_or_b64 exec, exec, s[0:1]
	s_waitcnt lgkmcnt(0)
	v_pk_add_f32 v[44:45], v[2:3], v[22:23] neg_lo:[0,1] neg_hi:[0,1]
	s_mov_b32 s28, 0xbf0a6770
	v_pk_add_f32 v[30:31], v[22:23], v[2:3]
	v_pk_add_f32 v[46:47], v[12:13], v[18:19] neg_lo:[0,1] neg_hi:[0,1]
	s_mov_b32 s4, 0x3f575c64
	v_pk_mul_f32 v[24:25], v[44:45], s[28:29] op_sel:[1,0] op_sel_hi:[0,0]
	s_mov_b32 s8, 0xbf68dda4
	v_pk_add_f32 v[28:29], v[18:19], v[12:13]
	v_pk_fma_f32 v[42:43], v[30:31], s[4:5], v[24:25] op_sel_hi:[1,0,1]
	v_pk_fma_f32 v[56:57], v[30:31], s[4:5], v[24:25] op_sel_hi:[1,0,1] neg_lo:[0,0,1] neg_hi:[0,0,1]
	s_mov_b32 s0, 0x3ed4b147
	v_pk_mul_f32 v[32:33], v[46:47], s[8:9] op_sel:[1,0] op_sel_hi:[0,0]
	v_mov_b32_e32 v24, v42
	v_mov_b32_e32 v25, v57
	v_pk_fma_f32 v[62:63], v[28:29], s[0:1], v[32:33] op_sel_hi:[1,0,1]
	v_pk_fma_f32 v[64:65], v[28:29], s[0:1], v[32:33] op_sel_hi:[1,0,1] neg_lo:[0,0,1] neg_hi:[0,0,1]
	v_pk_add_f32 v[24:25], v[24:25], v[0:1]
	v_pk_mul_f32 v[26:27], v[44:45], s[8:9] op_sel:[1,0] op_sel_hi:[0,0]
	v_mov_b32_e32 v32, v62
	v_mov_b32_e32 v33, v65
	s_mov_b32 s20, 0xbf4178ce
	v_pk_fma_f32 v[38:39], v[30:31], s[0:1], v[26:27] op_sel_hi:[1,0,1]
	v_pk_fma_f32 v[40:41], v[30:31], s[0:1], v[26:27] op_sel_hi:[1,0,1] neg_lo:[0,0,1] neg_hi:[0,0,1]
	v_pk_add_f32 v[24:25], v[32:33], v[24:25]
	s_mov_b32 s18, 0xbf27a4f4
	v_pk_mul_f32 v[32:33], v[46:47], s[20:21] op_sel:[1,0] op_sel_hi:[0,0]
	v_mov_b32_e32 v26, v38
	v_mov_b32_e32 v27, v41
	v_pk_fma_f32 v[58:59], v[28:29], s[18:19], v[32:33] op_sel_hi:[1,0,1]
	v_pk_fma_f32 v[60:61], v[28:29], s[18:19], v[32:33] op_sel_hi:[1,0,1] neg_lo:[0,0,1] neg_hi:[0,0,1]
	v_pk_add_f32 v[48:49], v[14:15], v[16:17] neg_lo:[0,1] neg_hi:[0,1]
	v_pk_add_f32 v[26:27], v[26:27], v[0:1]
	v_mov_b32_e32 v32, v58
	v_mov_b32_e32 v33, v61
	s_mov_b32 s10, 0xbf7d64f0
	v_pk_add_f32 v[20:21], v[16:17], v[14:15]
	v_pk_add_f32 v[26:27], v[32:33], v[26:27]
	s_mov_b32 s8, 0xbe11bafb
	v_pk_mul_f32 v[32:33], v[48:49], s[10:11] op_sel:[1,0] op_sel_hi:[0,0]
	v_pk_fma_f32 v[70:71], v[20:21], s[8:9], v[32:33] op_sel_hi:[1,0,1]
	v_pk_fma_f32 v[72:73], v[20:21], s[8:9], v[32:33] op_sel_hi:[1,0,1] neg_lo:[0,0,1] neg_hi:[0,0,1]
	v_mov_b32_e32 v32, v70
	v_mov_b32_e32 v33, v73
	s_mov_b32 s26, 0x3e903f40
	v_pk_add_f32 v[24:25], v[32:33], v[24:25]
	s_mov_b32 s22, 0xbf75a155
	v_pk_mul_f32 v[32:33], v[48:49], s[26:27] op_sel:[1,0] op_sel_hi:[0,0]
	v_pk_fma_f32 v[66:67], v[20:21], s[22:23], v[32:33] op_sel_hi:[1,0,1]
	v_pk_fma_f32 v[68:69], v[20:21], s[22:23], v[32:33] op_sel_hi:[1,0,1] neg_lo:[0,0,1] neg_hi:[0,0,1]
	v_mov_b32_e32 v32, v66
	v_mov_b32_e32 v33, v69
	v_pk_add_f32 v[92:93], v[4:5], v[10:11] neg_lo:[0,1] neg_hi:[0,1]
	v_pk_add_f32 v[26:27], v[32:33], v[26:27]
	v_pk_add_f32 v[32:33], v[10:11], v[4:5]
	v_pk_mul_f32 v[34:35], v[92:93], s[20:21] op_sel:[1,0] op_sel_hi:[0,0]
	v_pk_fma_f32 v[78:79], v[32:33], s[18:19], v[34:35] op_sel_hi:[1,0,1]
	v_pk_fma_f32 v[80:81], v[32:33], s[18:19], v[34:35] op_sel_hi:[1,0,1] neg_lo:[0,0,1] neg_hi:[0,0,1]
	v_mov_b32_e32 v34, v78
	v_mov_b32_e32 v35, v81
	s_mov_b32 s30, 0x3f7d64f0
	v_pk_add_f32 v[24:25], v[34:35], v[24:25]
	v_pk_mul_f32 v[34:35], v[92:93], s[30:31] op_sel:[1,0] op_sel_hi:[0,0]
	v_pk_fma_f32 v[74:75], v[32:33], s[8:9], v[34:35] op_sel_hi:[1,0,1]
	v_pk_fma_f32 v[76:77], v[32:33], s[8:9], v[34:35] op_sel_hi:[1,0,1] neg_lo:[0,0,1] neg_hi:[0,0,1]
	v_mov_b32_e32 v34, v74
	v_mov_b32_e32 v35, v77
	s_mov_b32 s24, 0xbe903f40
	v_pk_add_f32 v[116:117], v[6:7], v[8:9] neg_lo:[0,1] neg_hi:[0,1]
	v_pk_add_f32 v[26:27], v[34:35], v[26:27]
	v_pk_add_f32 v[36:37], v[8:9], v[6:7]
	v_pk_mul_f32 v[34:35], v[116:117], s[24:25] op_sel:[1,0] op_sel_hi:[0,0]
	v_pk_fma_f32 v[90:91], v[36:37], s[22:23], v[34:35] op_sel_hi:[1,0,1]
	v_pk_fma_f32 v[94:95], v[36:37], s[22:23], v[34:35] op_sel_hi:[1,0,1] neg_lo:[0,0,1] neg_hi:[0,0,1]
	v_mov_b32_e32 v34, v90
	v_mov_b32_e32 v35, v95
	v_pk_add_f32 v[54:55], v[34:35], v[24:25]
	v_pk_mul_f32 v[24:25], v[44:45], s[10:11] op_sel:[1,0] op_sel_hi:[0,0]
	v_pk_fma_f32 v[82:83], v[30:31], s[8:9], v[24:25] op_sel_hi:[1,0,1]
	v_pk_fma_f32 v[84:85], v[30:31], s[8:9], v[24:25] op_sel_hi:[1,0,1] neg_lo:[0,0,1] neg_hi:[0,0,1]
	v_pk_mul_f32 v[34:35], v[46:47], s[26:27] op_sel:[1,0] op_sel_hi:[0,0]
	v_mov_b32_e32 v24, v82
	v_mov_b32_e32 v25, v85
	v_pk_fma_f32 v[86:87], v[28:29], s[22:23], v[34:35] op_sel_hi:[1,0,1]
	v_pk_fma_f32 v[88:89], v[28:29], s[22:23], v[34:35] op_sel_hi:[1,0,1] neg_lo:[0,0,1] neg_hi:[0,0,1]
	v_mov_b32_e32 v34, v86
	v_mov_b32_e32 v35, v89
	v_pk_add_f32 v[24:25], v[24:25], v[0:1]
	s_mov_b32 s26, 0x3f68dda4
	v_pk_add_f32 v[24:25], v[34:35], v[24:25]
	v_pk_mul_f32 v[34:35], v[48:49], s[26:27] op_sel:[1,0] op_sel_hi:[0,0]
	v_pk_fma_f32 v[96:97], v[20:21], s[0:1], v[34:35] op_sel_hi:[1,0,1]
	v_pk_fma_f32 v[98:99], v[20:21], s[0:1], v[34:35] op_sel_hi:[1,0,1] neg_lo:[0,0,1] neg_hi:[0,0,1]
	v_mov_b32_e32 v34, v96
	v_mov_b32_e32 v35, v99
	v_pk_add_f32 v[24:25], v[34:35], v[24:25]
	v_pk_mul_f32 v[34:35], v[92:93], s[28:29] op_sel:[1,0] op_sel_hi:[0,0]
	v_pk_fma_f32 v[104:105], v[32:33], s[4:5], v[34:35] op_sel_hi:[1,0,1]
	v_pk_fma_f32 v[106:107], v[32:33], s[4:5], v[34:35] op_sel_hi:[1,0,1] neg_lo:[0,0,1] neg_hi:[0,0,1]
	v_mov_b32_e32 v34, v104
	v_mov_b32_e32 v35, v107
	;; [unrolled: 6-line block ×3, first 2 shown]
	v_pk_add_f32 v[34:35], v[34:35], v[24:25]
	v_pk_mul_f32 v[24:25], v[44:45], s[20:21] op_sel:[1,0] op_sel_hi:[0,0]
	v_pk_fma_f32 v[100:101], v[30:31], s[18:19], v[24:25] op_sel_hi:[1,0,1]
	v_pk_fma_f32 v[102:103], v[30:31], s[18:19], v[24:25] op_sel_hi:[1,0,1] neg_lo:[0,0,1] neg_hi:[0,0,1]
	v_pk_mul_f32 v[110:111], v[46:47], s[30:31] op_sel:[1,0] op_sel_hi:[0,0]
	v_mov_b32_e32 v24, v100
	v_mov_b32_e32 v25, v103
	v_pk_fma_f32 v[108:109], v[28:29], s[8:9], v[110:111] op_sel_hi:[1,0,1]
	v_pk_fma_f32 v[110:111], v[28:29], s[8:9], v[110:111] op_sel_hi:[1,0,1] neg_lo:[0,0,1] neg_hi:[0,0,1]
	v_mov_b32_e32 v118, v108
	v_mov_b32_e32 v119, v111
	v_pk_add_f32 v[24:25], v[24:25], v[0:1]
	v_pk_mul_f32 v[120:121], v[48:49], s[28:29] op_sel:[1,0] op_sel_hi:[0,0]
	v_pk_add_f32 v[24:25], v[118:119], v[24:25]
	v_pk_fma_f32 v[118:119], v[20:21], s[4:5], v[120:121] op_sel_hi:[1,0,1]
	v_pk_fma_f32 v[120:121], v[20:21], s[4:5], v[120:121] op_sel_hi:[1,0,1] neg_lo:[0,0,1] neg_hi:[0,0,1]
	v_mov_b32_e32 v122, v118
	v_mov_b32_e32 v123, v121
	v_pk_mul_f32 v[124:125], v[92:93], s[24:25] op_sel:[1,0] op_sel_hi:[0,0]
	v_pk_add_f32 v[24:25], v[122:123], v[24:25]
	v_pk_fma_f32 v[122:123], v[32:33], s[22:23], v[124:125] op_sel_hi:[1,0,1]
	v_pk_fma_f32 v[124:125], v[32:33], s[22:23], v[124:125] op_sel_hi:[1,0,1] neg_lo:[0,0,1] neg_hi:[0,0,1]
	v_mov_b32_e32 v126, v122
	v_mov_b32_e32 v127, v125
	s_mov_b32 s30, 0x3f0a6770
	v_pk_add_f32 v[24:25], v[126:127], v[24:25]
	v_pk_mul_f32 v[126:127], v[116:117], s[30:31] op_sel:[1,0] op_sel_hi:[0,0]
	v_pk_fma_f32 v[130:131], v[36:37], s[4:5], v[126:127] op_sel_hi:[1,0,1]
	v_pk_fma_f32 v[132:133], v[36:37], s[4:5], v[126:127] op_sel_hi:[1,0,1] neg_lo:[0,0,1] neg_hi:[0,0,1]
	v_mov_b32_e32 v126, v130
	v_mov_b32_e32 v127, v133
	v_pk_mul_f32 v[128:129], v[116:117], s[26:27] op_sel:[1,0] op_sel_hi:[0,0]
	v_pk_add_f32 v[26:27], v[126:127], v[26:27]
	v_pk_fma_f32 v[126:127], v[36:37], s[0:1], v[128:129] op_sel_hi:[1,0,1]
	v_pk_fma_f32 v[128:129], v[36:37], s[0:1], v[128:129] op_sel_hi:[1,0,1] neg_lo:[0,0,1] neg_hi:[0,0,1]
	v_mov_b32_e32 v134, v126
	v_mov_b32_e32 v135, v129
	v_pk_add_f32 v[24:25], v[134:135], v[24:25]
	v_mul_lo_u16_e32 v122, 11, v53
	s_barrier
	s_and_saveexec_b64 s[28:29], s[6:7]
	s_cbranch_execz .LBB0_7
; %bb.6:
	v_pk_add_f32 v[2:3], v[2:3], v[0:1]
	v_mov_b32_e32 v57, v43
	v_pk_add_f32 v[2:3], v[12:13], v[2:3]
	v_mov_b32_e32 v65, v63
	v_pk_add_f32 v[2:3], v[14:15], v[2:3]
	v_pk_add_f32 v[14:15], v[56:57], v[0:1]
	;; [unrolled: 1-line block ×5, first 2 shown]
	v_mov_b32_e32 v73, v71
	v_pk_add_f32 v[2:3], v[8:9], v[2:3]
	v_pk_add_f32 v[14:15], v[72:73], v[14:15]
	;; [unrolled: 1-line block ×3, first 2 shown]
	v_mov_b32_e32 v81, v79
	v_pk_add_f32 v[2:3], v[16:17], v[2:3]
	v_pk_add_f32 v[14:15], v[80:81], v[14:15]
	;; [unrolled: 1-line block ×3, first 2 shown]
	v_mov_b32_e32 v95, v91
	v_lshlrev_b32_e32 v38, 3, v122
	v_pk_add_f32 v[2:3], v[22:23], v[2:3]
	v_pk_add_f32 v[14:15], v[94:95], v[14:15]
	v_mov_b32_e32 v41, v39
	v_mov_b32_e32 v85, v83
	ds_write2_b64 v38, v[2:3], v[14:15] offset1:1
	v_pk_add_f32 v[2:3], v[40:41], v[0:1]
	v_mov_b32_e32 v61, v59
	v_pk_add_f32 v[14:15], v[84:85], v[0:1]
	v_mov_b32_e32 v89, v87
	;; [unrolled: 2-line block ×6, first 2 shown]
	v_mov_b32_e32 v4, v45
	v_mov_b32_e32 v5, v44
	v_pk_add_f32 v[2:3], v[76:77], v[2:3]
	v_mov_b32_e32 v133, v131
	v_pk_add_f32 v[14:15], v[106:107], v[14:15]
	v_mov_b32_e32 v115, v113
	v_mov_b32_e32 v6, v47
	;; [unrolled: 1-line block ×3, first 2 shown]
	v_pk_add_f32 v[2:3], v[132:133], v[2:3]
	v_pk_add_f32 v[14:15], v[114:115], v[14:15]
	v_pk_mul_f32 v[4:5], v[4:5], s[24:25] op_sel_hi:[1,0]
	ds_write2_b64 v38, v[2:3], v[14:15] offset0:2 offset1:3
	v_pk_fma_f32 v[14:15], v[30:31], s[22:23], v[4:5] op_sel_hi:[1,0,1] neg_lo:[0,0,1] neg_hi:[0,0,1]
	v_pk_fma_f32 v[4:5], v[30:31], s[22:23], v[4:5] op_sel_hi:[1,0,1]
	v_pk_mul_f32 v[6:7], v[6:7], s[30:31] op_sel_hi:[1,0]
	v_mov_b32_e32 v8, v49
	v_mov_b32_e32 v9, v48
	;; [unrolled: 1-line block ×4, first 2 shown]
	v_pk_fma_f32 v[18:19], v[28:29], s[4:5], v[6:7] op_sel_hi:[1,0,1] neg_lo:[0,0,1] neg_hi:[0,0,1]
	v_pk_fma_f32 v[6:7], v[28:29], s[4:5], v[6:7] op_sel_hi:[1,0,1]
	v_pk_add_f32 v[16:17], v[16:17], v[0:1]
	v_mov_b32_e32 v22, v18
	v_mov_b32_e32 v23, v7
	v_pk_mul_f32 v[8:9], v[8:9], s[20:21] op_sel_hi:[1,0]
	v_mov_b32_e32 v10, v93
	v_mov_b32_e32 v11, v92
	v_pk_add_f32 v[16:17], v[22:23], v[16:17]
	v_pk_fma_f32 v[22:23], v[20:21], s[18:19], v[8:9] op_sel_hi:[1,0,1] neg_lo:[0,0,1] neg_hi:[0,0,1]
	v_pk_fma_f32 v[8:9], v[20:21], s[18:19], v[8:9] op_sel_hi:[1,0,1]
	v_mov_b32_e32 v103, v101
	v_mov_b32_e32 v20, v22
	;; [unrolled: 1-line block ×3, first 2 shown]
	v_pk_mul_f32 v[10:11], v[10:11], s[26:27] op_sel_hi:[1,0]
	v_mov_b32_e32 v5, v15
	v_mov_b32_e32 v12, v117
	;; [unrolled: 1-line block ×3, first 2 shown]
	v_pk_add_f32 v[2:3], v[102:103], v[0:1]
	v_mov_b32_e32 v111, v109
	v_pk_add_f32 v[16:17], v[20:21], v[16:17]
	v_pk_fma_f32 v[20:21], v[32:33], s[0:1], v[10:11] op_sel_hi:[1,0,1] neg_lo:[0,0,1] neg_hi:[0,0,1]
	v_pk_fma_f32 v[10:11], v[32:33], s[0:1], v[10:11] op_sel_hi:[1,0,1]
	v_pk_add_f32 v[0:1], v[4:5], v[0:1]
	v_mov_b32_e32 v7, v19
	v_pk_add_f32 v[2:3], v[110:111], v[2:3]
	v_mov_b32_e32 v121, v119
	v_mov_b32_e32 v28, v20
	;; [unrolled: 1-line block ×3, first 2 shown]
	v_pk_mul_f32 v[12:13], v[12:13], s[10:11] op_sel_hi:[1,0]
	v_pk_add_f32 v[0:1], v[6:7], v[0:1]
	v_mov_b32_e32 v9, v23
	v_pk_add_f32 v[2:3], v[120:121], v[2:3]
	v_mov_b32_e32 v125, v123
	v_pk_add_f32 v[16:17], v[28:29], v[16:17]
	v_pk_fma_f32 v[28:29], v[36:37], s[8:9], v[12:13] op_sel_hi:[1,0,1] neg_lo:[0,0,1] neg_hi:[0,0,1]
	v_pk_fma_f32 v[12:13], v[36:37], s[8:9], v[12:13] op_sel_hi:[1,0,1]
	v_pk_add_f32 v[0:1], v[8:9], v[0:1]
	v_mov_b32_e32 v11, v21
	v_pk_add_f32 v[2:3], v[124:125], v[2:3]
	v_mov_b32_e32 v129, v127
	v_mov_b32_e32 v30, v28
	;; [unrolled: 1-line block ×3, first 2 shown]
	v_pk_add_f32 v[0:1], v[10:11], v[0:1]
	v_mov_b32_e32 v13, v29
	v_pk_add_f32 v[2:3], v[128:129], v[2:3]
	v_pk_add_f32 v[16:17], v[30:31], v[16:17]
	;; [unrolled: 1-line block ×3, first 2 shown]
	ds_write2_b64 v38, v[2:3], v[16:17] offset0:4 offset1:5
	ds_write2_b64 v38, v[0:1], v[24:25] offset0:6 offset1:7
	;; [unrolled: 1-line block ×3, first 2 shown]
	ds_write_b64 v38, v[54:55] offset:80
.LBB0_7:
	s_or_b64 exec, exec, s[28:29]
	s_movk_i32 s0, 0x75
	v_mul_lo_u16_sdwa v0, v53, s0 dst_sel:DWORD dst_unused:UNUSED_PAD src0_sel:BYTE_0 src1_sel:DWORD
	v_sub_u16_sdwa v1, v53, v0 dst_sel:DWORD dst_unused:UNUSED_PAD src0_sel:DWORD src1_sel:BYTE_1
	v_lshrrev_b16_e32 v1, 1, v1
	v_and_b32_e32 v1, 0x7f, v1
	v_add_u16_sdwa v0, v1, v0 dst_sel:DWORD dst_unused:UNUSED_PAD src0_sel:DWORD src1_sel:BYTE_1
	v_lshrrev_b16_e32 v51, 3, v0
	v_mul_lo_u16_e32 v0, 11, v51
	v_sub_u16_e32 v0, v53, v0
	v_and_b32_e32 v56, 0xff, v0
	v_mul_u32_u24_e32 v0, 6, v56
	v_lshlrev_b32_e32 v12, 3, v0
	s_load_dwordx4 s[8:11], s[2:3], 0x0
	s_waitcnt lgkmcnt(0)
	s_barrier
	global_load_dwordx4 v[4:7], v12, s[14:15]
	global_load_dwordx4 v[0:3], v12, s[14:15] offset:32
	global_load_dwordx4 v[8:11], v12, s[14:15] offset:16
	ds_read2_b64 v[12:15], v50 offset1:99
	ds_read_b64 v[28:29], v50 offset:4752
	v_add_u32_e32 v16, 0x400, v50
	v_add_u32_e32 v20, 0x800, v50
	ds_read2_b64 v[16:19], v16 offset0:70 offset1:169
	ds_read2_b64 v[20:23], v20 offset0:140 offset1:239
	s_mov_b32 s18, 0x3f4a47b2
	s_mov_b32 s4, 0x3d64c772
	;; [unrolled: 1-line block ×8, first 2 shown]
	s_waitcnt lgkmcnt(0)
	s_barrier
	s_waitcnt vmcnt(2)
	v_pk_mul_f32 v[30:31], v[14:15], v[4:5] op_sel_hi:[1,0]
	s_waitcnt vmcnt(1)
	v_pk_mul_f32 v[32:33], v[28:29], v[2:3] op_sel_hi:[1,0]
	v_mov_b32_e32 v36, v3
	s_waitcnt vmcnt(0)
	v_pk_mul_f32 v[38:39], v[18:19], v[8:9] op_sel:[0,1]
	v_mov_b32_e32 v42, v7
	v_mov_b32_e32 v40, v11
	v_pk_mul_f32 v[44:45], v[22:23], v[0:1] op_sel:[0,1]
	v_pk_fma_f32 v[46:47], v[14:15], v[4:5], v[30:31] op_sel:[0,1,1] op_sel_hi:[1,1,0]
	v_pk_fma_f32 v[14:15], v[14:15], v[4:5], v[30:31] op_sel:[0,1,1] op_sel_hi:[1,1,0] neg_lo:[1,0,0] neg_hi:[1,0,0]
	v_pk_fma_f32 v[30:31], v[28:29], v[36:37], v[32:33] op_sel:[0,0,1] op_sel_hi:[1,0,0]
	v_pk_fma_f32 v[28:29], v[28:29], v[36:37], v[32:33] op_sel:[0,0,1] op_sel_hi:[1,0,0] neg_lo:[1,0,0] neg_hi:[1,0,0]
	;; [unrolled: 2-line block ×3, first 2 shown]
	v_pk_mul_f32 v[38:39], v[16:17], v[42:43] op_sel_hi:[1,0]
	v_pk_mul_f32 v[36:37], v[20:21], v[40:41] op_sel_hi:[1,0]
	v_pk_fma_f32 v[40:41], v[22:23], v[0:1], v[44:45] op_sel:[0,0,1] op_sel_hi:[1,0,0]
	v_pk_fma_f32 v[22:23], v[22:23], v[0:1], v[44:45] op_sel:[0,0,1] op_sel_hi:[1,0,0] neg_lo:[0,0,1] neg_hi:[0,0,1]
	v_mov_b32_e32 v31, v29
	v_pk_fma_f32 v[28:29], v[16:17], v[6:7], v[38:39] op_sel:[0,0,1] op_sel_hi:[1,0,0]
	v_pk_fma_f32 v[16:17], v[16:17], v[6:7], v[38:39] op_sel:[0,0,1] op_sel_hi:[1,0,0] neg_lo:[0,0,1] neg_hi:[0,0,1]
	v_mov_b32_e32 v47, v15
	;; [unrolled: 3-line block ×3, first 2 shown]
	v_mov_b32_e32 v17, v29
	v_mov_b32_e32 v19, v33
	v_pk_add_f32 v[36:37], v[46:47], v[30:31]
	v_mov_b32_e32 v21, v15
	v_pk_add_f32 v[38:39], v[16:17], v[22:23]
	v_pk_add_f32 v[16:17], v[16:17], v[22:23] neg_lo:[0,1] neg_hi:[0,1]
	v_pk_add_f32 v[22:23], v[20:21], v[18:19] neg_lo:[0,1] neg_hi:[0,1]
	v_mov_b32_e32 v14, v37
	v_mov_b32_e32 v21, v36
	;; [unrolled: 1-line block ×4, first 2 shown]
	v_pk_add_f32 v[30:31], v[46:47], v[30:31] neg_lo:[0,1] neg_hi:[0,1]
	v_pk_add_f32 v[14:15], v[32:33], v[14:15]
	v_pk_add_f32 v[18:19], v[18:19], v[20:21]
	v_mov_b32_e32 v28, v36
	v_mov_b32_e32 v29, v31
	v_pk_add_f32 v[40:41], v[22:23], v[16:17]
	v_pk_add_f32 v[42:43], v[22:23], v[16:17] neg_lo:[0,1] neg_hi:[0,1]
	v_pk_add_f32 v[44:45], v[38:39], v[36:37] op_sel:[1,0] op_sel_hi:[0,1] neg_lo:[0,1] neg_hi:[0,1]
	v_sub_f32_e32 v57, v30, v23
	v_mov_b32_e32 v23, v22
	v_sub_f32_e32 v58, v37, v18
	v_mov_b32_e32 v22, v15
	v_mov_b32_e32 v36, v15
	v_mov_b32_e32 v37, v18
	v_pk_add_f32 v[16:17], v[16:17], v[30:31] op_sel:[0,1] op_sel_hi:[1,0] neg_lo:[0,1] neg_hi:[0,1]
	v_pk_add_f32 v[22:23], v[28:29], v[22:23] neg_lo:[0,1] neg_hi:[0,1]
	v_pk_add_f32 v[28:29], v[36:37], v[38:39] op_sel:[0,1] op_sel_hi:[1,0] neg_lo:[0,1] neg_hi:[0,1]
	v_pk_mul_f32 v[32:33], v[16:17], s[22:23] op_sel_hi:[1,0]
	v_pk_add_f32 v[14:15], v[14:15], v[18:19]
	v_pk_mul_f32 v[38:39], v[28:29], s[4:5] op_sel_hi:[1,0]
	v_pk_mul_f32 v[48:49], v[22:23], s[18:19]
	v_pk_add_f32 v[30:31], v[40:41], v[30:31] op_sel:[0,1] op_sel_hi:[1,0]
	v_pk_mul_f32 v[20:21], v[44:45], s[20:21] op_sel_hi:[1,0]
	v_pk_add_f32 v[40:41], v[12:13], v[14:15]
	v_mul_f32_e32 v13, 0x3f955555, v15
	v_fmamk_f32 v37, v58, 0x3f4a47b2, v39
	v_pk_fma_f32 v[44:45], v[44:45], s[20:21], v[38:39] op_sel_hi:[1,0,1] neg_lo:[0,0,1] neg_hi:[0,0,1]
	v_mov_b32_e32 v12, v49
	v_xor_b32_e32 v39, 0x80000000, v32
	v_pk_mul_f32 v[46:47], v[42:43], s[0:1] op_sel_hi:[1,0]
	v_pk_mul_f32 v[18:19], v[30:31], s[2:3] op_sel_hi:[1,0]
	v_pk_fma_f32 v[42:43], v[42:43], s[0:1], v[12:13] op_sel_hi:[1,0,1]
	v_pk_add_f32 v[12:13], v[40:41], v[12:13] neg_lo:[0,1] neg_hi:[0,1]
	v_pk_fma_f32 v[28:29], v[28:29], s[4:5], v[48:49] op_sel_hi:[1,0,1]
	v_pk_fma_f32 v[22:23], v[22:23], s[18:19], v[38:39] neg_lo:[1,0,0] neg_hi:[1,0,0]
	v_fma_f32 v36, v58, s1, -v21
	v_fmamk_f32 v15, v14, 0xbf955555, v40
	v_sub_f32_e64 v21, -v48, v20
	v_mov_b32_e32 v43, v13
	v_mov_b32_e32 v29, v23
	s_mov_b32 s0, 0xbeae86e6
	v_mov_b32_e32 v14, v13
	v_mov_b32_e32 v20, v18
	;; [unrolled: 1-line block ×4, first 2 shown]
	v_pk_fma_f32 v[16:17], v[16:17], s[22:23], v[46:47] op_sel_hi:[1,0,1] neg_lo:[0,0,1] neg_hi:[0,0,1]
	v_fmac_f32_e32 v47, 0x3eae86e6, v57
	v_fma_f32 v46, v57, s0, -v33
	v_pk_add_f32 v[22:23], v[44:45], v[14:15]
	v_pk_add_f32 v[20:21], v[20:21], v[42:43]
	;; [unrolled: 1-line block ×3, first 2 shown]
	v_mov_b32_e32 v14, v15
	v_pk_fma_f32 v[16:17], v[30:31], s[2:3], v[16:17] op_sel_hi:[1,0,1]
	v_pk_add_f32 v[14:15], v[36:37], v[14:15] op_sel_hi:[1,0]
	v_pk_add_f32 v[18:19], v[18:19], v[46:47] op_sel:[1,0]
	v_mov_b32_e32 v28, v21
	v_mov_b32_e32 v29, v12
	v_mov_b32_e32 v30, v13
	v_mov_b32_e32 v31, v20
	v_pk_add_f32 v[36:37], v[18:19], v[14:15]
	v_pk_add_f32 v[42:43], v[28:29], v[30:31] neg_lo:[0,1] neg_hi:[0,1]
	v_pk_add_f32 v[44:45], v[12:13], v[20:21]
	v_mul_u32_u24_e32 v12, 0x4d, v51
	v_pk_add_f32 v[38:39], v[16:17], v[22:23]
	v_pk_add_f32 v[46:47], v[22:23], v[16:17] neg_lo:[0,1] neg_hi:[0,1]
	v_add_lshl_u32 v118, v12, v56, 3
	v_mov_b32_e32 v12, v37
	v_mov_b32_e32 v13, v43
	v_pk_add_f32 v[32:33], v[14:15], v[18:19] neg_lo:[0,1] neg_hi:[0,1]
	s_movk_i32 s0, 0x4d
	ds_write2_b64 v118, v[40:41], v[12:13] offset1:11
	v_mov_b32_e32 v12, v36
	v_mov_b32_e32 v13, v42
	;; [unrolled: 1-line block ×4, first 2 shown]
	ds_write2_b64 v118, v[12:13], v[14:15] offset0:22 offset1:33
	v_mov_b32_e32 v12, v39
	v_mov_b32_e32 v13, v46
	v_mov_b32_e32 v14, v32
	v_mov_b32_e32 v15, v45
	v_cmp_gt_u16_e64 s[2:3], s0, v53
	s_movk_i32 s0, 0x4c
	ds_write2_b64 v118, v[12:13], v[14:15] offset0:44 offset1:55
	v_mov_b32_e32 v12, v33
	v_mov_b32_e32 v13, v44
	v_cmp_lt_u16_e64 s[4:5], s0, v53
	ds_write_b64 v118, v[12:13] offset:528
	s_waitcnt lgkmcnt(0)
	s_barrier
	s_and_saveexec_b64 s[0:1], s[4:5]
	s_xor_b64 s[0:1], exec, s[0:1]
	s_andn2_saveexec_b64 s[0:1], s[0:1]
	s_cbranch_execz .LBB0_9
; %bb.8:
	v_add_u32_e32 v12, 0x800, v50
	v_add_u32_e32 v13, 0xc00, v50
	ds_read2_b64 v[22:25], v13 offset0:78 offset1:155
	ds_read2_b64 v[30:33], v12 offset0:52 offset1:129
	;; [unrolled: 1-line block ×3, first 2 shown]
	ds_read2_b64 v[40:43], v50 offset1:77
	ds_read_b64 v[34:35], v50 offset:4928
	s_waitcnt lgkmcnt(4)
	v_mov_b32_e32 v44, v23
	s_waitcnt lgkmcnt(3)
	v_mov_b32_e32 v45, v33
	;; [unrolled: 2-line block ×3, first 2 shown]
	v_mov_b32_e32 v39, v30
	v_mov_b32_e32 v36, v12
	s_waitcnt lgkmcnt(1)
	v_mov_b32_e32 v37, v42
	v_mov_b32_e32 v33, v22
	;; [unrolled: 1-line block ×5, first 2 shown]
.LBB0_9:
	s_or_b64 exec, exec, s[0:1]
	s_movk_i32 s0, 0xfd98
	v_mov_b32_e32 v51, 0
	s_mov_b32 s1, -1
	v_lshl_add_u64 v[12:13], v[50:51], 0, s[0:1]
	v_cndmask_b32_e64 v13, v13, 0, s[2:3]
	v_cndmask_b32_e64 v12, v12, v50, s[2:3]
	v_lshl_add_u64 v[48:49], v[12:13], 3, s[14:15]
	global_load_dwordx4 v[20:23], v[48:49], off offset:528
	global_load_dwordx4 v[12:15], v[48:49], off offset:544
	;; [unrolled: 1-line block ×4, first 2 shown]
	v_mov_b32_e32 v48, v37
	v_mov_b32_e32 v56, v43
	v_mov_b32_e32 v60, v33
	v_mov_b32_e32 v62, v25
	s_waitcnt lgkmcnt(0)
	v_mov_b32_e32 v64, v35
	v_mov_b32_e32 v58, v47
	s_mov_b32 s0, 0x3eaf1d44
	s_mov_b32 s1, 0x3f5db3d7
	;; [unrolled: 1-line block ×5, first 2 shown]
	s_waitcnt vmcnt(3)
	v_pk_mul_f32 v[66:67], v[42:43], v[20:21]
	s_waitcnt vmcnt(2)
	v_pk_mul_f32 v[72:73], v[46:47], v[12:13]
	s_waitcnt vmcnt(1)
	v_pk_mul_f32 v[76:77], v[32:33], v[18:19]
	v_mov_b32_e32 v66, v23
	v_pk_mul_f32 v[70:71], v[38:39], v[12:13]
	v_mov_b32_e32 v72, v19
	s_waitcnt vmcnt(0)
	v_pk_mul_f32 v[78:79], v[24:25], v[28:29]
	v_mov_b32_e32 v76, v29
	v_pk_mul_f32 v[80:81], v[34:35], v[30:31]
	v_pk_mul_f32 v[68:69], v[36:37], v[20:21]
	;; [unrolled: 1-line block ×3, first 2 shown]
	v_mov_b32_e32 v78, v31
	v_pk_mul_f32 v[82:83], v[44:45], v[16:17] op_sel:[1,0]
	v_mov_b32_e32 v80, v67
	v_pk_mul_f32 v[86:87], v[42:43], v[66:67]
	v_pk_mul_f32 v[44:45], v[44:45], v[72:73]
	v_mov_b32_e32 v72, v79
	v_pk_mul_f32 v[88:89], v[24:25], v[76:77]
	v_mov_b32_e32 v76, v81
	v_mov_b32_e32 v49, v70
	;; [unrolled: 1-line block ×4, first 2 shown]
	v_pk_mul_f32 v[66:67], v[36:37], v[66:67]
	v_pk_mul_f32 v[78:79], v[34:35], v[78:79]
	v_pk_fma_f32 v[80:81], v[48:49], v[20:21], v[80:81] neg_lo:[0,0,1] neg_hi:[0,0,1]
	v_pk_fma_f32 v[36:37], v[36:37], v[22:23], v[86:87] neg_lo:[0,0,1] neg_hi:[0,0,1]
	;; [unrolled: 1-line block ×4, first 2 shown]
	v_pk_mul_f32 v[46:47], v[46:47], v[14:15] op_sel_hi:[0,1]
	v_pk_mul_f32 v[68:69], v[38:39], v[68:69]
	v_pk_fma_f32 v[56:57], v[56:57], v[20:21], v[84:85]
	v_pk_fma_f32 v[42:43], v[42:43], v[22:23], v[66:67]
	v_pk_fma_f32 v[44:45], v[60:61], v[18:19], v[44:45] neg_lo:[0,0,1] neg_hi:[0,0,1]
	v_pk_fma_f32 v[60:61], v[62:63], v[28:29], v[88:89]
	v_pk_fma_f32 v[62:63], v[64:65], v[30:31], v[78:79]
	v_mov_b32_e32 v81, v74
	v_mov_b32_e32 v35, v77
	;; [unrolled: 1-line block ×4, first 2 shown]
	v_pk_fma_f32 v[70:71], v[38:39], v[14:15], v[46:47] op_sel:[1,0,1] op_sel_hi:[1,1,0] neg_lo:[0,0,1] neg_hi:[0,0,1]
	v_pk_fma_f32 v[38:39], v[38:39], v[14:15], v[46:47] op_sel:[1,0,1] op_sel_hi:[1,1,0]
	v_pk_fma_f32 v[46:47], v[32:33], v[16:17], v[82:83] op_sel:[0,0,1] op_sel_hi:[1,1,0] neg_lo:[0,0,1] neg_hi:[0,0,1]
	v_pk_fma_f32 v[32:33], v[32:33], v[16:17], v[82:83] op_sel:[0,0,1] op_sel_hi:[0,1,0]
	v_pk_fma_f32 v[58:59], v[58:59], v[12:13], v[68:69] neg_lo:[0,0,1] neg_hi:[0,0,1]
	v_pk_add_f32 v[68:69], v[56:57], v[62:63]
	v_pk_add_f32 v[74:75], v[42:43], v[60:61]
	v_mov_b32_e32 v67, v62
	v_pk_add_f32 v[62:63], v[80:81], v[34:35]
	v_pk_add_f32 v[48:49], v[48:49], v[72:73]
	v_mov_b32_e32 v71, v39
	v_mov_b32_e32 v47, v33
	;; [unrolled: 1-line block ×13, first 2 shown]
	v_pk_add_f32 v[78:79], v[32:33], v[38:39] neg_lo:[0,1] neg_hi:[0,1]
	v_pk_add_f32 v[32:33], v[42:43], v[60:61] neg_lo:[0,1] neg_hi:[0,1]
	;; [unrolled: 1-line block ×3, first 2 shown]
	v_pk_add_f32 v[42:43], v[58:59], v[44:45]
	v_pk_add_f32 v[64:65], v[48:49], v[62:63]
	v_pk_add_f32 v[76:77], v[36:37], v[24:25] neg_lo:[0,1] neg_hi:[0,1]
	v_fmamk_f32 v25, v68, 0x3f441b7d, v41
	v_fmamk_f32 v34, v62, 0x3f441b7d, v40
	v_mov_b32_e32 v66, v42
	v_mov_b32_e32 v67, v65
	v_sub_f32_e32 v24, v58, v44
	v_fmac_f32_e32 v25, 0x3e31d0d4, v74
	v_mul_f32_e32 v36, 0x3f248dbb, v79
	v_fmac_f32_e32 v34, 0x3e31d0d4, v48
	v_pk_mul_f32 v[44:45], v[66:67], 0.5 op_sel_hi:[1,0]
	v_fmac_f32_e32 v36, 0x3f7c1c5c, v76
	v_mul_f32_e32 v35, 0x3f248dbb, v39
	v_sub_f32_e32 v49, v34, v44
	v_sub_f32_e32 v57, v25, v45
	v_mul_f32_e32 v25, 0xbf248dbb, v78
	v_mul_f32_e32 v34, 0xbf248dbb, v38
	v_pk_mul_f32 v[60:61], v[32:33], s[0:1]
	v_fmac_f32_e32 v36, 0x3f5db3d7, v24
	v_fmac_f32_e32 v35, 0x3f7c1c5c, v32
	;; [unrolled: 1-line block ×4, first 2 shown]
	v_mul_f32_e32 v73, 0x3f5db3d7, v24
	v_add_f32_e32 v51, v61, v35
	v_fmac_f32_e32 v36, 0x3eaf1d44, v78
	v_fmamk_f32 v59, v24, 0xbf5db3d7, v25
	v_sub_f32_e32 v24, v34, v61
	v_pk_add_f32 v[86:87], v[70:71], v[46:47]
	v_fmac_f32_e32 v51, 0x3eaf1d44, v38
	v_add_f32_e32 v35, v36, v36
	v_add_f32_e32 v60, v60, v24
	v_mov_b32_e32 v24, v79
	v_mov_b32_e32 v34, v39
	v_fmac_f32_e32 v49, 0xbf708fb2, v86
	v_fmac_f32_e32 v57, 0xbf708fb2, v87
	v_add_f32_e32 v56, v51, v51
	v_pk_add_f32 v[24:25], v[78:79], v[24:25]
	v_pk_add_f32 v[80:81], v[38:39], v[34:35]
	v_add_f32_e32 v34, v51, v49
	v_sub_f32_e32 v57, v57, v36
	v_pk_add_f32 v[82:83], v[24:25], v[76:77] neg_lo:[0,1] neg_hi:[0,1]
	v_pk_add_f32 v[80:81], v[80:81], v[32:33] neg_lo:[0,1] neg_hi:[0,1]
	;; [unrolled: 1-line block ×3, first 2 shown]
	v_pk_add_f32 v[88:89], v[34:35], v[56:57]
	v_fmamk_f32 v33, v86, 0x3f441b7d, v40
	v_fmamk_f32 v35, v87, 0x3f441b7d, v41
	v_fmac_f32_e32 v33, 0x3e31d0d4, v62
	v_fmac_f32_e32 v35, 0x3e31d0d4, v68
	v_sub_f32_e32 v33, v33, v44
	v_sub_f32_e32 v35, v35, v45
	v_fmac_f32_e32 v59, 0x3eaf1d44, v76
	v_fmac_f32_e32 v33, 0xbf708fb2, v48
	;; [unrolled: 1-line block ×3, first 2 shown]
	v_add_f32_e32 v58, v60, v60
	v_add_f32_e32 v37, v59, v59
	;; [unrolled: 1-line block ×3, first 2 shown]
	v_sub_f32_e32 v59, v35, v59
	v_mov_b32_e32 v25, v89
	v_pk_add_f32 v[44:45], v[36:37], v[58:59] neg_lo:[0,1] neg_hi:[0,1]
	v_pk_add_f32 v[88:89], v[36:37], v[58:59]
	v_mul_f32_e32 v33, 0x3f7c1c5c, v78
	v_mul_f32_e32 v35, 0x3f7c1c5c, v38
	v_mov_b32_e32 v45, v89
	v_mov_b32_e32 v88, v64
	;; [unrolled: 1-line block ×3, first 2 shown]
	v_fma_f32 v77, v76, s15, -v33
	v_fma_f32 v76, v32, s15, -v35
	v_pk_add_f32 v[32:33], v[64:65], v[42:43]
	v_pk_add_f32 v[84:85], v[40:41], v[66:67]
	;; [unrolled: 1-line block ×4, first 2 shown]
	v_mov_b32_e32 v78, v39
	v_pk_add_f32 v[32:33], v[46:47], v[32:33]
	v_mov_b32_e32 v81, v82
	v_pk_fma_f32 v[38:39], v[88:89], 0.5, v[84:85] op_sel_hi:[1,0,1] neg_lo:[1,0,0] neg_hi:[1,0,0]
	v_pk_add_f32 v[32:33], v[40:41], v[32:33]
	v_fmac_f32_e32 v40, 0x3f441b7d, v48
	v_pk_mul_f32 v[42:43], v[80:81], s[18:19] op_sel_hi:[1,0]
	v_pk_fma_f32 v[46:47], v[80:81], s[18:19], v[38:39] op_sel_hi:[1,0,1]
	v_pk_fma_f32 v[48:49], v[80:81], s[18:19], v[38:39] op_sel_hi:[1,0,1] neg_lo:[1,0,0] neg_hi:[1,0,0]
	v_fmac_f32_e32 v41, 0x3f441b7d, v74
	v_add_f32_e32 v42, v42, v42
	v_add_f32_e32 v65, v43, v43
	v_mov_b32_e32 v64, v46
	v_mov_b32_e32 v43, v49
	v_fmac_f32_e32 v40, 0x3e31d0d4, v86
	v_fmac_f32_e32 v41, 0x3e31d0d4, v87
	v_mov_b32_e32 v38, v46
	v_pk_add_f32 v[42:43], v[46:47], v[42:43] neg_lo:[0,1] neg_hi:[0,1]
	v_pk_add_f32 v[46:47], v[64:65], v[48:49]
	v_mov_b32_e32 v72, v61
	v_mov_b32_e32 v43, v47
	v_pk_add_f32 v[46:47], v[72:73], v[76:77]
	v_pk_fma_f32 v[40:41], v[66:67], 0.5, v[40:41] op_sel_hi:[1,0,1] neg_lo:[1,0,0] neg_hi:[1,0,0]
	v_mov_b32_e32 v63, v68
	v_mov_b32_e32 v39, v49
	v_pk_fma_f32 v[48:49], v[78:79], s[0:1], v[46:47] op_sel_hi:[1,0,1]
	v_pk_fma_f32 v[40:41], v[62:63], s[14:15], v[40:41] op_sel_hi:[1,0,1]
	v_add_f32_e32 v63, v49, v49
	v_pk_add_f32 v[60:61], v[40:41], v[48:49]
	v_pk_add_f32 v[40:41], v[40:41], v[48:49] neg_lo:[0,1] neg_hi:[0,1]
	v_add_f32_e32 v48, v48, v48
	v_mov_b32_e32 v62, v60
	v_mov_b32_e32 v49, v41
	v_mov_b32_e32 v47, v41
	v_pk_add_f32 v[48:49], v[60:61], v[48:49] neg_lo:[0,1] neg_hi:[0,1]
	v_pk_add_f32 v[40:41], v[62:63], v[40:41]
	v_mov_b32_e32 v46, v60
	v_mov_b32_e32 v49, v41
	s_and_saveexec_b64 s[0:1], s[2:3]
	s_cbranch_execz .LBB0_11
; %bb.10:
	v_mov_b32_e32 v35, v57
	ds_write2_b64 v50, v[32:33], v[34:35] offset1:77
	v_add_u32_e32 v35, 0x800, v50
	v_mov_b32_e32 v37, v59
	ds_write2_b64 v35, v[46:47], v[48:49] offset0:52 offset1:129
	v_add_u32_e32 v35, 0xc00, v50
	ds_write2_b64 v50, v[36:37], v[38:39] offset0:154 offset1:231
	ds_write2_b64 v35, v[42:43], v[44:45] offset0:78 offset1:155
	ds_write_b64 v50, v[24:25] offset:4928
.LBB0_11:
	s_or_b64 exec, exec, s[0:1]
	s_waitcnt lgkmcnt(0)
	s_barrier
	s_and_saveexec_b64 s[0:1], s[6:7]
	s_cbranch_execz .LBB0_13
; %bb.12:
	v_mov_b32_e32 v51, 0
	v_lshl_add_u64 v[40:41], s[12:13], 0, v[50:51]
	v_add_co_u32_e32 v60, vcc, 0x1000, v40
	s_mov_b64 s[14:15], 0x15a8
	s_nop 0
	v_addc_co_u32_e32 v61, vcc, 0, v41, vcc
	global_load_dwordx2 v[60:61], v[60:61], off offset:1448
	v_lshl_add_u64 v[62:63], v[40:41], 0, s[14:15]
	s_movk_i32 s14, 0x2000
	v_add_co_u32_e32 v40, vcc, s14, v40
	global_load_dwordx2 v[80:81], v[62:63], off offset:504
	global_load_dwordx2 v[82:83], v[62:63], off offset:1008
	;; [unrolled: 1-line block ×3, first 2 shown]
	v_addc_co_u32_e32 v41, vcc, 0, v41, vcc
	global_load_dwordx2 v[86:87], v[62:63], off offset:2016
	global_load_dwordx2 v[88:89], v[62:63], off offset:2520
	;; [unrolled: 1-line block ×7, first 2 shown]
	ds_read_b64 v[40:41], v50
	v_add_u32_e32 v35, 0x800, v50
	v_add_u32_e32 v37, 0x1000, v50
	s_waitcnt vmcnt(10) lgkmcnt(0)
	v_mul_f32_e32 v51, v41, v61
	v_mul_f32_e32 v63, v40, v61
	v_fma_f32 v62, v40, v60, -v51
	v_fmac_f32_e32 v63, v41, v60
	ds_write_b64 v50, v[62:63]
	ds_read2_b64 v[60:63], v50 offset0:63 offset1:126
	ds_read2_b64 v[64:67], v50 offset0:189 offset1:252
	;; [unrolled: 1-line block ×5, first 2 shown]
	s_waitcnt vmcnt(9) lgkmcnt(4)
	v_mul_f32_e32 v40, v61, v81
	v_mul_f32_e32 v41, v60, v81
	s_waitcnt vmcnt(8)
	v_mul_f32_e32 v51, v63, v83
	v_mul_f32_e32 v81, v62, v83
	s_waitcnt vmcnt(7) lgkmcnt(3)
	v_mul_f32_e32 v56, v65, v85
	v_mul_f32_e32 v83, v64, v85
	s_waitcnt vmcnt(6)
	v_mul_f32_e32 v58, v67, v87
	v_mul_f32_e32 v85, v66, v87
	s_waitcnt vmcnt(5) lgkmcnt(2)
	v_mul_f32_e32 v100, v69, v89
	v_mul_f32_e32 v87, v68, v89
	s_waitcnt vmcnt(4)
	v_mul_f32_e32 v101, v71, v91
	v_mul_f32_e32 v89, v70, v91
	s_waitcnt vmcnt(3) lgkmcnt(1)
	v_mul_f32_e32 v102, v73, v93
	v_mul_f32_e32 v91, v72, v93
	s_waitcnt vmcnt(2)
	v_mul_f32_e32 v103, v75, v95
	v_mul_f32_e32 v93, v74, v95
	s_waitcnt vmcnt(1) lgkmcnt(0)
	v_mul_f32_e32 v104, v77, v97
	v_mul_f32_e32 v95, v76, v97
	s_waitcnt vmcnt(0)
	v_mul_f32_e32 v105, v79, v99
	v_mul_f32_e32 v97, v78, v99
	v_fma_f32 v40, v60, v80, -v40
	v_fmac_f32_e32 v41, v61, v80
	v_fma_f32 v80, v62, v82, -v51
	v_fmac_f32_e32 v81, v63, v82
	;; [unrolled: 2-line block ×10, first 2 shown]
	ds_write2_b64 v50, v[40:41], v[80:81] offset0:63 offset1:126
	ds_write2_b64 v50, v[82:83], v[84:85] offset0:189 offset1:252
	;; [unrolled: 1-line block ×5, first 2 shown]
.LBB0_13:
	s_or_b64 exec, exec, s[0:1]
	v_mov_b32_e32 v37, v59
	v_mov_b32_e32 v35, v57
	s_waitcnt lgkmcnt(0)
	s_barrier
	s_and_saveexec_b64 s[0:1], s[6:7]
	s_cbranch_execz .LBB0_15
; %bb.14:
	v_add_u32_e32 v24, 0x400, v50
	ds_read2_b64 v[32:35], v50 offset1:63
	ds_read2_b64 v[36:39], v50 offset0:126 offset1:189
	ds_read2_b64 v[46:49], v24 offset0:124 offset1:187
	v_add_u32_e32 v24, 0x800, v50
	ds_read2_b64 v[42:45], v24 offset0:122 offset1:185
	v_add_u32_e32 v24, 0xc00, v50
	ds_read2_b64 v[24:27], v24 offset0:120 offset1:183
	ds_read_b64 v[54:55], v50 offset:5040
.LBB0_15:
	s_or_b64 exec, exec, s[0:1]
	s_waitcnt lgkmcnt(0)
	v_pk_add_f32 v[40:41], v[34:35], v[54:55] neg_lo:[0,1] neg_hi:[0,1]
	v_pk_add_f32 v[76:77], v[34:35], v[54:55]
	v_mov_b32_e32 v59, v40
	v_mov_b32_e32 v58, v76
	v_mov_b32_e32 v76, v41
	v_pk_add_f32 v[40:41], v[36:37], v[26:27] neg_lo:[0,1] neg_hi:[0,1]
	v_pk_add_f32 v[74:75], v[36:37], v[26:27]
	v_mov_b32_e32 v61, v40
	v_mov_b32_e32 v60, v74
	v_mov_b32_e32 v74, v41
	v_pk_add_f32 v[40:41], v[38:39], v[24:25] neg_lo:[0,1] neg_hi:[0,1]
	v_pk_add_f32 v[72:73], v[38:39], v[24:25]
	s_mov_b32 s22, 0xbf7d64f0
	v_mov_b32_e32 v62, v72
	v_mov_b32_e32 v63, v40
	;; [unrolled: 1-line block ×3, first 2 shown]
	v_pk_add_f32 v[40:41], v[46:47], v[44:45] neg_lo:[0,1] neg_hi:[0,1]
	v_pk_add_f32 v[70:71], v[46:47], v[44:45]
	s_mov_b32 s23, 0xbe11bafb
	s_mov_b32 s44, 0x3e903f40
	v_mov_b32_e32 v64, v70
	v_mov_b32_e32 v65, v40
	;; [unrolled: 1-line block ×3, first 2 shown]
	v_pk_add_f32 v[40:41], v[48:49], v[42:43] neg_lo:[0,1] neg_hi:[0,1]
	v_pk_add_f32 v[68:69], v[48:49], v[42:43]
	v_pk_mul_f32 v[80:81], v[76:77], s[22:23]
	s_mov_b32 s0, s23
	s_mov_b32 s1, s22
	;; [unrolled: 1-line block ×3, first 2 shown]
	v_mov_b32_e32 v66, v68
	v_mov_b32_e32 v67, v40
	v_mov_b32_e32 v68, v41
	v_pk_fma_f32 v[40:41], v[58:59], s[0:1], v[80:81] neg_lo:[0,0,1] neg_hi:[0,0,1]
	v_pk_fma_f32 v[78:79], v[58:59], s[0:1], v[80:81]
	v_pk_mul_f32 v[84:85], v[74:75], s[44:45]
	s_mov_b32 s14, s45
	s_mov_b32 s15, s44
	;; [unrolled: 1-line block ×3, first 2 shown]
	v_mov_b32_e32 v41, v79
	v_pk_fma_f32 v[56:57], v[60:61], s[14:15], v[84:85] neg_lo:[0,0,1] neg_hi:[0,0,1]
	v_pk_fma_f32 v[82:83], v[60:61], s[14:15], v[84:85]
	s_mov_b32 s35, 0x3ed4b147
	v_pk_add_f32 v[40:41], v[32:33], v[40:41]
	v_mov_b32_e32 v57, v83
	v_pk_mul_f32 v[88:89], v[72:73], s[34:35]
	s_mov_b32 s26, s35
	s_mov_b32 s27, s34
	v_pk_add_f32 v[40:41], v[56:57], v[40:41]
	v_pk_fma_f32 v[56:57], v[62:63], s[26:27], v[88:89] neg_lo:[0,0,1] neg_hi:[0,0,1]
	v_pk_fma_f32 v[86:87], v[62:63], s[26:27], v[88:89]
	s_mov_b32 s37, 0x3f575c64
	s_mov_b32 s36, 0xbf0a6770
	v_mov_b32_e32 v57, v87
	v_pk_mul_f32 v[90:91], v[70:71], s[36:37]
	s_mov_b32 s18, s37
	s_mov_b32 s19, s36
	s_mov_b32 s38, 0xbf4178ce
	v_pk_add_f32 v[40:41], v[56:57], v[40:41]
	v_pk_fma_f32 v[56:57], v[64:65], s[18:19], v[90:91] neg_lo:[0,0,1] neg_hi:[0,0,1]
	v_pk_fma_f32 v[92:93], v[64:65], s[18:19], v[90:91]
	s_mov_b32 s39, 0xbf27a4f4
	v_mov_b32_e32 v57, v93
	v_pk_mul_f32 v[98:99], v[68:69], s[38:39]
	s_mov_b32 s20, s39
	s_mov_b32 s21, s38
	v_pk_add_f32 v[40:41], v[56:57], v[40:41]
	v_pk_fma_f32 v[56:57], v[66:67], s[20:21], v[98:99] neg_lo:[0,0,1] neg_hi:[0,0,1]
	v_pk_fma_f32 v[100:101], v[66:67], s[20:21], v[98:99]
	v_pk_mul_f32 v[96:97], v[76:77], s[38:39]
	v_mov_b32_e32 v57, v101
	s_mov_b32 s46, 0x3f7d64f0
	s_mov_b32 s47, s23
	v_pk_add_f32 v[56:57], v[56:57], v[40:41]
	v_pk_fma_f32 v[40:41], v[58:59], s[20:21], v[96:97] neg_lo:[0,0,1] neg_hi:[0,0,1]
	v_pk_fma_f32 v[94:95], v[58:59], s[20:21], v[96:97]
	v_pk_mul_f32 v[102:103], v[74:75], s[46:47]
	s_mov_b32 s30, s23
	s_mov_b32 s31, s46
	v_mov_b32_e32 v41, v95
	v_pk_fma_f32 v[106:107], v[60:61], s[30:31], v[102:103] neg_lo:[0,0,1] neg_hi:[0,0,1]
	v_pk_fma_f32 v[104:105], v[60:61], s[30:31], v[102:103]
	v_pk_add_f32 v[40:41], v[32:33], v[40:41]
	v_mov_b32_e32 v107, v105
	v_pk_mul_f32 v[108:109], v[72:73], s[36:37]
	v_pk_add_f32 v[40:41], v[106:107], v[40:41]
	v_pk_fma_f32 v[110:111], v[62:63], s[18:19], v[108:109] neg_lo:[0,0,1] neg_hi:[0,0,1]
	v_pk_fma_f32 v[106:107], v[62:63], s[18:19], v[108:109]
	s_mov_b32 s42, 0xbe903f40
	v_mov_b32_e32 v111, v107
	s_mov_b32 s43, s45
	v_pk_add_f32 v[40:41], v[110:111], v[40:41]
	v_pk_mul_f32 v[110:111], v[70:71], s[42:43]
	s_mov_b32 s24, s45
	s_mov_b32 s25, s42
	v_pk_fma_f32 v[114:115], v[64:65], s[24:25], v[110:111] neg_lo:[0,0,1] neg_hi:[0,0,1]
	v_pk_fma_f32 v[112:113], v[64:65], s[24:25], v[110:111]
	v_pk_mul_f32 v[116:117], v[68:69], s[34:35]
	v_mov_b32_e32 v115, v113
	v_pk_add_f32 v[40:41], v[114:115], v[40:41]
	v_pk_fma_f32 v[120:121], v[66:67], s[26:27], v[116:117] neg_lo:[0,0,1] neg_hi:[0,0,1]
	v_pk_fma_f32 v[114:115], v[66:67], s[26:27], v[116:117]
	s_nop 0
	v_mov_b32_e32 v121, v115
	v_pk_add_f32 v[40:41], v[120:121], v[40:41]
	s_barrier
	s_and_saveexec_b64 s[28:29], s[6:7]
	s_cbranch_execz .LBB0_17
; %bb.16:
	v_pk_add_f32 v[34:35], v[34:35], v[32:33]
	s_mov_b32 s41, 0xbf68dda4
	v_pk_add_f32 v[34:35], v[36:37], v[34:35]
	s_mov_b32 s48, s41
	;; [unrolled: 2-line block ×4, first 2 shown]
	v_pk_add_f32 v[34:35], v[48:49], v[34:35]
	v_pk_mul_f32 v[38:39], v[74:75], s[48:49]
	v_pk_add_f32 v[34:35], v[42:43], v[34:35]
	v_pk_fma_f32 v[42:43], v[60:61], s[40:41], v[38:39]
	v_pk_add_f32 v[34:35], v[44:45], v[34:35]
	v_pk_fma_f32 v[44:45], v[60:61], s[40:41], v[38:39] neg_lo:[1,0,0] neg_hi:[1,0,0]
	v_pk_add_f32 v[24:25], v[24:25], v[34:35]
	v_mov_b32_e32 v44, v42
	v_pk_add_f32 v[24:25], v[26:27], v[24:25]
	v_pk_mul_f32 v[26:27], v[76:77], s[36:37]
	v_lshlrev_b32_e32 v51, 3, v122
	v_pk_fma_f32 v[34:35], v[58:59], s[18:19], v[26:27]
	v_pk_fma_f32 v[36:37], v[58:59], s[18:19], v[26:27] neg_lo:[1,0,0] neg_hi:[1,0,0]
	v_pk_add_f32 v[24:25], v[54:55], v[24:25]
	v_mov_b32_e32 v36, v34
	v_pk_add_f32 v[36:37], v[32:33], v[36:37]
	v_pk_mul_f32 v[128:129], v[74:75], s[38:39]
	v_pk_add_f32 v[36:37], v[44:45], v[36:37]
	v_pk_mul_f32 v[44:45], v[72:73], s[22:23]
	v_pk_fma_f32 v[130:131], v[60:61], s[20:21], v[128:129]
	v_pk_fma_f32 v[46:47], v[62:63], s[0:1], v[44:45]
	v_pk_fma_f32 v[48:49], v[62:63], s[0:1], v[44:45] neg_lo:[1,0,0] neg_hi:[1,0,0]
	v_pk_fma_f32 v[132:133], v[60:61], s[20:21], v[128:129] neg_lo:[1,0,0] neg_hi:[1,0,0]
	v_mov_b32_e32 v48, v46
	v_pk_add_f32 v[36:37], v[48:49], v[36:37]
	v_pk_mul_f32 v[48:49], v[70:71], s[38:39]
	v_mov_b32_e32 v132, v130
	v_pk_fma_f32 v[54:55], v[64:65], s[20:21], v[48:49]
	v_pk_fma_f32 v[122:123], v[64:65], s[20:21], v[48:49] neg_lo:[1,0,0] neg_hi:[1,0,0]
	v_pk_mul_f32 v[120:121], v[58:59], s[0:1]
	v_mov_b32_e32 v122, v54
	v_pk_add_f32 v[36:37], v[122:123], v[36:37]
	v_pk_mul_f32 v[122:123], v[68:69], s[42:43]
	v_pk_add_f32 v[80:81], v[80:81], v[120:121] neg_lo:[0,1] neg_hi:[0,1]
	v_pk_fma_f32 v[124:125], v[66:67], s[24:25], v[122:123]
	v_pk_fma_f32 v[126:127], v[66:67], s[24:25], v[122:123] neg_lo:[1,0,0] neg_hi:[1,0,0]
	v_mov_b32_e32 v79, v81
	v_mov_b32_e32 v126, v124
	v_pk_add_f32 v[36:37], v[126:127], v[36:37]
	ds_write2_b64 v51, v[24:25], v[36:37] offset1:1
	v_pk_mul_f32 v[24:25], v[76:77], s[48:49]
	v_pk_mul_f32 v[80:81], v[64:65], s[18:19]
	v_pk_fma_f32 v[36:37], v[58:59], s[40:41], v[24:25]
	v_pk_fma_f32 v[126:127], v[58:59], s[40:41], v[24:25] neg_lo:[1,0,0] neg_hi:[1,0,0]
	v_pk_fma_f32 v[24:25], v[58:59], s[40:41], v[24:25] neg_lo:[0,0,1] neg_hi:[0,0,1]
	v_mov_b32_e32 v126, v36
	v_pk_add_f32 v[126:127], v[32:33], v[126:127]
	v_mov_b32_e32 v25, v37
	v_pk_add_f32 v[126:127], v[132:133], v[126:127]
	v_pk_mul_f32 v[132:133], v[72:73], s[44:45]
	s_mov_b32 s45, 0x3f0a6770
	v_pk_fma_f32 v[134:135], v[62:63], s[14:15], v[132:133]
	v_pk_fma_f32 v[136:137], v[62:63], s[14:15], v[132:133] neg_lo:[1,0,0] neg_hi:[1,0,0]
	s_mov_b32 s36, s45
	v_mov_b32_e32 v136, v134
	v_pk_add_f32 v[126:127], v[136:137], v[126:127]
	v_pk_mul_f32 v[136:137], v[70:71], s[46:47]
	s_mov_b32 s44, s37
	v_pk_fma_f32 v[138:139], v[64:65], s[30:31], v[136:137]
	v_pk_fma_f32 v[140:141], v[64:65], s[30:31], v[136:137] neg_lo:[1,0,0] neg_hi:[1,0,0]
	v_pk_fma_f32 v[36:37], v[60:61], s[20:21], v[128:129] neg_lo:[0,0,1] neg_hi:[0,0,1]
	v_mov_b32_e32 v140, v138
	v_pk_add_f32 v[126:127], v[140:141], v[126:127]
	v_pk_mul_f32 v[140:141], v[68:69], s[36:37]
	v_pk_add_f32 v[24:25], v[32:33], v[24:25]
	v_pk_fma_f32 v[142:143], v[66:67], s[44:45], v[140:141]
	v_pk_fma_f32 v[144:145], v[66:67], s[44:45], v[140:141] neg_lo:[1,0,0] neg_hi:[1,0,0]
	v_mov_b32_e32 v37, v131
	v_mov_b32_e32 v144, v142
	v_pk_add_f32 v[126:127], v[144:145], v[126:127]
	v_pk_mul_f32 v[144:145], v[60:61], s[14:15]
	v_pk_add_f32 v[24:25], v[36:37], v[24:25]
	v_pk_add_f32 v[84:85], v[84:85], v[144:145] neg_lo:[0,1] neg_hi:[0,1]
	v_pk_fma_f32 v[36:37], v[62:63], s[14:15], v[132:133] neg_lo:[0,0,1] neg_hi:[0,0,1]
	v_pk_mul_f32 v[144:145], v[66:67], s[20:21]
	v_mov_b32_e32 v83, v85
	v_pk_add_f32 v[78:79], v[32:33], v[78:79]
	v_pk_add_f32 v[80:81], v[90:91], v[80:81] neg_lo:[0,1] neg_hi:[0,1]
	v_mov_b32_e32 v37, v135
	v_pk_mul_f32 v[120:121], v[62:63], s[26:27]
	v_pk_add_f32 v[78:79], v[82:83], v[78:79]
	v_pk_mul_f32 v[82:83], v[60:61], s[30:31]
	v_mov_b32_e32 v93, v81
	v_pk_add_f32 v[80:81], v[98:99], v[144:145] neg_lo:[0,1] neg_hi:[0,1]
	v_pk_add_f32 v[24:25], v[36:37], v[24:25]
	v_pk_fma_f32 v[36:37], v[64:65], s[30:31], v[136:137] neg_lo:[0,0,1] neg_hi:[0,0,1]
	v_pk_add_f32 v[88:89], v[88:89], v[120:121] neg_lo:[0,1] neg_hi:[0,1]
	v_pk_mul_f32 v[120:121], v[62:63], s[18:19]
	v_mov_b32_e32 v101, v81
	v_pk_add_f32 v[80:81], v[102:103], v[82:83] neg_lo:[0,1] neg_hi:[0,1]
	v_mov_b32_e32 v37, v139
	v_mov_b32_e32 v87, v89
	v_pk_mul_f32 v[88:89], v[64:65], s[24:25]
	v_mov_b32_e32 v105, v81
	v_pk_add_f32 v[80:81], v[108:109], v[120:121] neg_lo:[0,1] neg_hi:[0,1]
	v_pk_add_f32 v[24:25], v[36:37], v[24:25]
	v_pk_fma_f32 v[36:37], v[66:67], s[44:45], v[140:141] neg_lo:[0,0,1] neg_hi:[0,0,1]
	v_pk_add_f32 v[78:79], v[86:87], v[78:79]
	v_pk_mul_f32 v[86:87], v[66:67], s[26:27]
	v_mov_b32_e32 v107, v81
	v_pk_add_f32 v[80:81], v[110:111], v[88:89] neg_lo:[0,1] neg_hi:[0,1]
	v_mov_b32_e32 v37, v143
	v_pk_add_f32 v[78:79], v[92:93], v[78:79]
	v_mov_b32_e32 v113, v81
	v_pk_add_f32 v[80:81], v[116:117], v[86:87] neg_lo:[0,1] neg_hi:[0,1]
	v_pk_mul_f32 v[76:77], v[76:77], s[42:43]
	v_pk_add_f32 v[24:25], v[36:37], v[24:25]
	v_pk_mul_f32 v[84:85], v[58:59], s[20:21]
	v_pk_add_f32 v[78:79], v[100:101], v[78:79]
	v_mov_b32_e32 v115, v81
	v_pk_fma_f32 v[80:81], v[58:59], s[24:25], v[76:77]
	v_pk_fma_f32 v[82:83], v[58:59], s[24:25], v[76:77] neg_lo:[1,0,0] neg_hi:[1,0,0]
	v_pk_mul_f32 v[74:75], v[74:75], s[36:37]
	ds_write2_b64 v51, v[56:57], v[24:25] offset0:8 offset1:9
	v_pk_fma_f32 v[24:25], v[58:59], s[18:19], v[26:27] neg_lo:[0,0,1] neg_hi:[0,0,1]
	ds_write2_b64 v51, v[126:127], v[78:79] offset0:2 offset1:3
	v_pk_add_f32 v[78:79], v[96:97], v[84:85] neg_lo:[0,1] neg_hi:[0,1]
	v_mov_b32_e32 v82, v80
	v_pk_fma_f32 v[84:85], v[60:61], s[44:45], v[74:75]
	v_pk_fma_f32 v[86:87], v[60:61], s[44:45], v[74:75] neg_lo:[1,0,0] neg_hi:[1,0,0]
	v_mov_b32_e32 v25, v35
	v_pk_fma_f32 v[26:27], v[60:61], s[40:41], v[38:39] neg_lo:[0,0,1] neg_hi:[0,0,1]
	v_pk_add_f32 v[82:83], v[32:33], v[82:83]
	v_mov_b32_e32 v86, v84
	v_pk_mul_f32 v[72:73], v[72:73], s[38:39]
	v_pk_add_f32 v[24:25], v[32:33], v[24:25]
	v_mov_b32_e32 v27, v43
	v_pk_add_f32 v[82:83], v[86:87], v[82:83]
	v_pk_fma_f32 v[86:87], v[62:63], s[20:21], v[72:73]
	v_pk_fma_f32 v[88:89], v[62:63], s[20:21], v[72:73] neg_lo:[1,0,0] neg_hi:[1,0,0]
	v_pk_fma_f32 v[76:77], v[58:59], s[24:25], v[76:77] neg_lo:[0,0,1] neg_hi:[0,0,1]
	v_pk_add_f32 v[24:25], v[26:27], v[24:25]
	v_pk_fma_f32 v[26:27], v[62:63], s[0:1], v[44:45] neg_lo:[0,0,1] neg_hi:[0,0,1]
	v_mov_b32_e32 v95, v79
	v_mov_b32_e32 v88, v86
	v_pk_mul_f32 v[70:71], v[70:71], s[34:35]
	v_mov_b32_e32 v77, v81
	v_pk_fma_f32 v[74:75], v[60:61], s[44:45], v[74:75] neg_lo:[0,0,1] neg_hi:[0,0,1]
	v_mov_b32_e32 v27, v47
	v_pk_add_f32 v[78:79], v[32:33], v[94:95]
	v_pk_add_f32 v[82:83], v[88:89], v[82:83]
	v_pk_fma_f32 v[88:89], v[64:65], s[26:27], v[70:71]
	v_pk_fma_f32 v[90:91], v[64:65], s[26:27], v[70:71] neg_lo:[1,0,0] neg_hi:[1,0,0]
	v_pk_add_f32 v[76:77], v[32:33], v[76:77]
	v_mov_b32_e32 v75, v85
	v_pk_fma_f32 v[72:73], v[62:63], s[20:21], v[72:73] neg_lo:[0,0,1] neg_hi:[0,0,1]
	v_pk_add_f32 v[24:25], v[26:27], v[24:25]
	v_pk_fma_f32 v[26:27], v[64:65], s[20:21], v[48:49] neg_lo:[0,0,1] neg_hi:[0,0,1]
	v_pk_add_f32 v[78:79], v[104:105], v[78:79]
	v_mov_b32_e32 v90, v88
	v_pk_mul_f32 v[68:69], v[68:69], s[22:23]
	v_pk_add_f32 v[74:75], v[74:75], v[76:77]
	v_mov_b32_e32 v73, v87
	v_pk_fma_f32 v[70:71], v[64:65], s[26:27], v[70:71] neg_lo:[0,0,1] neg_hi:[0,0,1]
	v_mov_b32_e32 v27, v55
	v_pk_add_f32 v[78:79], v[106:107], v[78:79]
	v_pk_add_f32 v[82:83], v[90:91], v[82:83]
	v_pk_fma_f32 v[90:91], v[66:67], s[0:1], v[68:69]
	v_pk_fma_f32 v[92:93], v[66:67], s[0:1], v[68:69] neg_lo:[1,0,0] neg_hi:[1,0,0]
	v_pk_add_f32 v[72:73], v[72:73], v[74:75]
	v_mov_b32_e32 v71, v89
	v_pk_fma_f32 v[68:69], v[66:67], s[0:1], v[68:69] neg_lo:[0,0,1] neg_hi:[0,0,1]
	v_pk_add_f32 v[24:25], v[26:27], v[24:25]
	v_pk_fma_f32 v[26:27], v[66:67], s[24:25], v[122:123] neg_lo:[0,0,1] neg_hi:[0,0,1]
	v_pk_add_f32 v[78:79], v[112:113], v[78:79]
	v_mov_b32_e32 v92, v90
	v_pk_add_f32 v[70:71], v[70:71], v[72:73]
	v_mov_b32_e32 v69, v91
	v_mov_b32_e32 v27, v125
	v_pk_add_f32 v[78:79], v[114:115], v[78:79]
	v_pk_add_f32 v[82:83], v[92:93], v[82:83]
	;; [unrolled: 1-line block ×4, first 2 shown]
	ds_write2_b64 v51, v[78:79], v[82:83] offset0:4 offset1:5
	ds_write2_b64 v51, v[68:69], v[40:41] offset0:6 offset1:7
	ds_write_b64 v51, v[24:25] offset:80
.LBB0_17:
	s_or_b64 exec, exec, s[28:29]
	v_add_u32_e32 v24, 0x400, v50
	s_waitcnt lgkmcnt(0)
	s_barrier
	ds_read2_b64 v[24:27], v24 offset0:70 offset1:169
	ds_read2_b64 v[32:35], v50 offset1:99
	v_add_u32_e32 v36, 0x800, v50
	ds_read2_b64 v[36:39], v36 offset0:140 offset1:239
	ds_read_b64 v[42:43], v50 offset:4752
	v_mov_b32_e32 v46, v9
	s_waitcnt lgkmcnt(3)
	v_pk_mul_f32 v[48:49], v[8:9], v[26:27] op_sel:[0,1] op_sel_hi:[1,0]
	v_pk_mul_f32 v[44:45], v[8:9], v[26:27]
	v_mov_b32_e32 v48, v49
	s_waitcnt lgkmcnt(1)
	v_pk_mul_f32 v[54:55], v[10:11], v[36:37] op_sel:[0,1] op_sel_hi:[1,0]
	v_pk_fma_f32 v[8:9], v[8:9], v[26:27], v[48:49] op_sel:[0,1,0] op_sel_hi:[1,0,1] neg_lo:[0,0,1] neg_hi:[0,0,1]
	v_mov_b32_e32 v48, v11
	v_mov_b32_e32 v54, v55
	v_pk_mul_f32 v[46:47], v[46:47], v[26:27] op_sel:[0,1] op_sel_hi:[1,0]
	v_pk_mul_f32 v[26:27], v[10:11], v[36:37]
	v_pk_mul_f32 v[48:49], v[48:49], v[36:37] op_sel:[0,1] op_sel_hi:[1,0]
	v_pk_fma_f32 v[10:11], v[10:11], v[36:37], v[54:55] op_sel:[0,1,0] op_sel_hi:[1,0,1] neg_lo:[0,0,1] neg_hi:[0,0,1]
	v_mov_b32_e32 v36, v35
	v_pk_mul_f32 v[54:55], v[4:5], v[34:35] op_sel_hi:[1,0]
	s_mov_b32 s0, 0x3d64c772
	v_pk_fma_f32 v[36:37], v[4:5], v[36:37], v[54:55] op_sel:[0,0,1] op_sel_hi:[1,1,0] neg_lo:[0,0,1] neg_hi:[0,0,1]
	v_pk_fma_f32 v[4:5], v[4:5], v[34:35], v[54:55] op_sel:[0,1,1] op_sel_hi:[1,1,0]
	v_pk_mul_f32 v[34:35], v[6:7], v[24:25] op_sel_hi:[1,0]
	v_mov_b32_e32 v4, v25
	v_mov_b32_e32 v37, v5
	v_pk_fma_f32 v[4:5], v[6:7], v[4:5], v[34:35] op_sel:[0,0,1] op_sel_hi:[1,1,0] neg_lo:[0,0,1] neg_hi:[0,0,1]
	v_pk_fma_f32 v[6:7], v[6:7], v[24:25], v[34:35] op_sel:[0,1,1] op_sel_hi:[1,1,0]
	v_pk_mul_f32 v[24:25], v[0:1], v[38:39] op_sel_hi:[1,0]
	v_mov_b32_e32 v6, v39
	v_mov_b32_e32 v5, v7
	v_pk_fma_f32 v[6:7], v[0:1], v[6:7], v[24:25] op_sel:[0,0,1] op_sel_hi:[1,1,0] neg_lo:[0,0,1] neg_hi:[0,0,1]
	v_pk_fma_f32 v[0:1], v[0:1], v[38:39], v[24:25] op_sel:[0,1,1] op_sel_hi:[1,1,0]
	s_waitcnt lgkmcnt(0)
	v_pk_mul_f32 v[24:25], v[2:3], v[42:43] op_sel_hi:[1,0]
	v_mov_b32_e32 v0, v43
	v_mov_b32_e32 v7, v1
	v_pk_fma_f32 v[0:1], v[2:3], v[0:1], v[24:25] op_sel:[0,0,1] op_sel_hi:[1,1,0] neg_lo:[0,0,1] neg_hi:[0,0,1]
	v_pk_fma_f32 v[2:3], v[2:3], v[42:43], v[24:25] op_sel:[0,1,1] op_sel_hi:[1,1,0]
	v_mov_b32_e32 v27, v36
	v_mov_b32_e32 v1, v3
	;; [unrolled: 1-line block ×5, first 2 shown]
	v_pk_add_f32 v[2:3], v[36:37], v[0:1]
	v_pk_add_f32 v[34:35], v[36:37], v[0:1] neg_lo:[0,1] neg_hi:[0,1]
	v_pk_add_f32 v[26:27], v[26:27], v[48:49]
	v_pk_add_f32 v[0:1], v[44:45], v[46:47]
	;; [unrolled: 1-line block ×3, first 2 shown]
	v_mov_b32_e32 v11, v26
	v_mov_b32_e32 v9, v0
	v_pk_add_f32 v[38:39], v[4:5], v[6:7] neg_lo:[0,1] neg_hi:[0,1]
	v_pk_add_f32 v[4:5], v[10:11], v[8:9] neg_lo:[0,1] neg_hi:[0,1]
	v_mov_b32_e32 v36, v25
	v_mov_b32_e32 v37, v8
	;; [unrolled: 1-line block ×4, first 2 shown]
	v_pk_add_f32 v[8:9], v[36:37], v[8:9]
	v_pk_add_f32 v[10:11], v[0:1], v[26:27]
	v_mov_b32_e32 v0, v25
	v_mov_b32_e32 v26, v3
	v_pk_add_f32 v[24:25], v[0:1], v[26:27] neg_lo:[0,1] neg_hi:[0,1]
	v_sub_f32_e32 v26, v3, v10
	v_mov_b32_e32 v2, v10
	v_mov_b32_e32 v3, v9
	v_pk_add_f32 v[2:3], v[2:3], v[0:1] neg_lo:[0,1] neg_hi:[0,1]
	v_pk_add_f32 v[0:1], v[4:5], v[38:39]
	v_sub_f32_e32 v51, v34, v4
	v_pk_add_f32 v[6:7], v[38:39], v[34:35] neg_lo:[0,1] neg_hi:[0,1]
	v_pk_add_f32 v[36:37], v[4:5], v[38:39] neg_lo:[0,1] neg_hi:[0,1]
	v_pk_add_f32 v[10:11], v[8:9], v[10:11]
	v_pk_add_f32 v[38:39], v[0:1], v[34:35]
	v_pk_mul_f32 v[2:3], v[2:3], s[0:1] op_sel_hi:[1,0]
	s_mov_b32 s0, 0x3f3bfb3b
	s_mov_b32 s20, 0x3f4a47b2
	v_mov_b32_e32 v34, v27
	v_mov_b32_e32 v4, v9
	v_pk_add_f32 v[0:1], v[32:33], v[10:11]
	v_pk_mul_f32 v[32:33], v[24:25], s[0:1] op_sel_hi:[1,0]
	s_mov_b32 s18, 0x3f08b237
	s_mov_b32 s21, 0xbeae86e6
	v_pk_fma_f32 v[48:49], v[24:25], s[0:1], v[2:3] op_sel_hi:[1,0,1] neg_lo:[0,0,1] neg_hi:[0,0,1]
	s_mov_b32 s0, 0xbf4a47b2
	v_pk_add_f32 v[4:5], v[34:35], v[4:5] neg_lo:[0,1] neg_hi:[0,1]
	v_pk_mul_f32 v[36:37], v[36:37], s[18:19] op_sel_hi:[1,0]
	v_fmamk_f32 v47, v26, 0x3f4a47b2, v2
	v_fma_f32 v46, v26, s0, -v32
	v_pk_mul_f32 v[26:27], v[4:5], s[20:21]
	v_mul_f32_e32 v11, 0x3f955555, v11
	s_mov_b32 s18, 0xbf5ff5aa
	v_fmamk_f32 v8, v10, 0xbf955555, v0
	v_mov_b32_e32 v2, v37
	v_mov_b32_e32 v10, v27
	s_mov_b32 s14, 0xbee1c552
	v_pk_mul_f32 v[44:45], v[6:7], s[18:19] op_sel_hi:[1,0]
	s_mov_b32 s0, 0x3eae86e6
	v_pk_add_f32 v[34:35], v[2:3], v[10:11]
	v_mov_b32_e32 v2, v3
	v_pk_mul_f32 v[42:43], v[38:39], s[14:15] op_sel_hi:[1,0]
	v_fmamk_f32 v25, v51, 0xbeae86e6, v36
	v_pk_fma_f32 v[6:7], v[6:7], s[18:19], v[36:37] op_sel_hi:[1,0,1] neg_lo:[0,0,1] neg_hi:[0,0,1]
	v_fma_f32 v24, v51, s0, -v44
	v_pk_add_f32 v[10:11], v[0:1], v[10:11] neg_lo:[0,1] neg_hi:[0,1]
	v_pk_fma_f32 v[2:3], v[4:5], s[20:21], v[2:3]
	v_pk_fma_f32 v[4:5], v[4:5], s[20:21], v[44:45] neg_lo:[1,0,1] neg_hi:[1,0,1]
	v_pk_fma_f32 v[38:39], v[38:39], s[14:15], v[6:7] op_sel_hi:[1,0,1]
	v_pk_add_f32 v[6:7], v[46:47], v[8:9] op_sel_hi:[1,0]
	v_pk_add_f32 v[46:47], v[42:43], v[24:25] op_sel_hi:[0,1]
	v_mov_b32_e32 v35, v11
	v_sub_f32_e64 v27, -v26, v33
	v_mov_b32_e32 v3, v5
	v_mov_b32_e32 v26, v43
	;; [unrolled: 1-line block ×3, first 2 shown]
	v_pk_add_f32 v[4:5], v[26:27], v[34:35]
	v_pk_add_f32 v[32:33], v[2:3], v[42:43]
	v_mov_b32_e32 v9, v11
	v_mov_b32_e32 v2, v5
	;; [unrolled: 1-line block ×5, first 2 shown]
	v_pk_add_f32 v[24:25], v[46:47], v[6:7]
	v_pk_add_f32 v[8:9], v[48:49], v[8:9]
	v_pk_add_f32 v[2:3], v[2:3], v[10:11] neg_lo:[0,1] neg_hi:[0,1]
	v_pk_add_f32 v[26:27], v[38:39], v[8:9]
	v_pk_add_f32 v[10:11], v[8:9], v[38:39] neg_lo:[0,1] neg_hi:[0,1]
	v_pk_add_f32 v[32:33], v[32:33], v[4:5]
	v_mov_b32_e32 v4, v25
	v_mov_b32_e32 v5, v3
	v_pk_add_f32 v[6:7], v[6:7], v[46:47] neg_lo:[0,1] neg_hi:[0,1]
	s_barrier
	ds_write2_b64 v118, v[0:1], v[4:5] offset1:11
	v_mov_b32_e32 v4, v24
	v_mov_b32_e32 v5, v2
	;; [unrolled: 1-line block ×4, first 2 shown]
	ds_write2_b64 v118, v[4:5], v[8:9] offset0:22 offset1:33
	v_mov_b32_e32 v4, v26
	v_mov_b32_e32 v5, v11
	;; [unrolled: 1-line block ×4, first 2 shown]
	ds_write2_b64 v118, v[4:5], v[8:9] offset0:44 offset1:55
	v_mov_b32_e32 v4, v7
	v_mov_b32_e32 v5, v32
	ds_write_b64 v118, v[4:5] offset:528
	s_waitcnt lgkmcnt(0)
	s_barrier
	s_and_saveexec_b64 s[0:1], s[4:5]
	s_xor_b64 s[0:1], exec, s[0:1]
	s_andn2_saveexec_b64 s[0:1], s[0:1]
	s_cbranch_execz .LBB0_19
; %bb.18:
	v_add_u32_e32 v0, 0x800, v50
	v_add_u32_e32 v1, 0xc00, v50
	ds_read2_b64 v[38:41], v1 offset0:78 offset1:155
	ds_read2_b64 v[4:7], v0 offset0:52 offset1:129
	ds_read2_b64 v[0:3], v50 offset1:77
	ds_read2_b64 v[8:11], v50 offset0:154 offset1:231
	ds_read_b64 v[56:57], v50 offset:4928
	s_waitcnt lgkmcnt(4)
	v_mov_b32_e32 v32, v39
	s_waitcnt lgkmcnt(3)
	v_mov_b32_e32 v33, v7
	v_mov_b32_e32 v26, v4
	s_waitcnt lgkmcnt(1)
	v_mov_b32_e32 v27, v11
	v_mov_b32_e32 v24, v8
	;; [unrolled: 1-line block ×6, first 2 shown]
.LBB0_19:
	s_or_b64 exec, exec, s[0:1]
	s_and_saveexec_b64 s[0:1], s[2:3]
	s_cbranch_execz .LBB0_21
; %bb.20:
	v_pk_mul_f32 v[4:5], v[20:21], v[2:3] op_sel:[0,1]
	s_waitcnt lgkmcnt(0)
	v_pk_mul_f32 v[8:9], v[30:31], v[56:57] op_sel:[0,1]
	v_pk_mul_f32 v[36:37], v[18:19], v[32:33] op_sel_hi:[1,0]
	v_pk_mul_f32 v[34:35], v[12:13], v[26:27] op_sel:[0,1]
	v_pk_fma_f32 v[44:45], v[30:31], v[56:57], v[8:9] op_sel:[0,0,1] op_sel_hi:[1,1,0]
	v_pk_fma_f32 v[8:9], v[30:31], v[56:57], v[8:9] op_sel:[0,0,1] op_sel_hi:[1,0,0] neg_lo:[1,0,0] neg_hi:[1,0,0]
	v_pk_fma_f32 v[30:31], v[20:21], v[24:25], v[4:5] op_sel:[0,1,1] op_sel_hi:[1,1,0]
	v_pk_fma_f32 v[4:5], v[20:21], v[24:25], v[4:5] op_sel:[0,1,1] op_sel_hi:[1,1,0] neg_lo:[1,0,0] neg_hi:[1,0,0]
	v_pk_fma_f32 v[20:21], v[18:19], v[6:7], v[36:37] op_sel:[0,1,1] op_sel_hi:[1,1,0]
	v_pk_fma_f32 v[18:19], v[18:19], v[6:7], v[36:37] op_sel:[0,1,1] op_sel_hi:[1,1,0] neg_lo:[1,0,0] neg_hi:[1,0,0]
	v_pk_mul_f32 v[2:3], v[22:23], v[2:3] op_sel_hi:[1,0]
	v_pk_mul_f32 v[38:39], v[28:29], v[40:41] op_sel:[0,1]
	v_pk_mul_f32 v[42:43], v[14:15], v[10:11] op_sel:[0,1]
	v_mov_b32_e32 v21, v19
	v_pk_fma_f32 v[18:19], v[12:13], v[10:11], v[34:35] op_sel:[0,0,1] op_sel_hi:[1,1,0]
	v_pk_fma_f32 v[10:11], v[12:13], v[10:11], v[34:35] op_sel:[0,0,1] op_sel_hi:[1,0,0] neg_lo:[1,0,0] neg_hi:[1,0,0]
	v_pk_mul_f32 v[32:33], v[16:17], v[32:33] op_sel:[0,1]
	v_mov_b32_e32 v19, v11
	v_pk_fma_f32 v[10:11], v[28:29], v[40:41], v[38:39] op_sel:[0,0,1] op_sel_hi:[1,1,0]
	v_pk_fma_f32 v[12:13], v[28:29], v[40:41], v[38:39] op_sel:[0,0,1] op_sel_hi:[1,0,0] neg_lo:[1,0,0] neg_hi:[1,0,0]
	v_pk_fma_f32 v[28:29], v[22:23], v[24:25], v[2:3] op_sel:[0,0,1] op_sel_hi:[1,1,0]
	v_pk_fma_f32 v[2:3], v[22:23], v[24:25], v[2:3] op_sel:[0,0,1] op_sel_hi:[1,0,0] neg_lo:[1,0,0] neg_hi:[1,0,0]
	s_mov_b32 s4, 0x3f248dbb
	v_mov_b32_e32 v11, v13
	v_mov_b32_e32 v29, v3
	v_pk_fma_f32 v[22:23], v[16:17], v[6:7], v[32:33] op_sel:[0,0,1] op_sel_hi:[1,1,0]
	v_pk_fma_f32 v[6:7], v[16:17], v[6:7], v[32:33] op_sel:[0,0,1] op_sel_hi:[1,0,0] neg_lo:[1,0,0] neg_hi:[1,0,0]
	v_mov_b32_e32 v2, v3
	v_mov_b32_e32 v3, v30
	;; [unrolled: 1-line block ×4, first 2 shown]
	s_mov_b32 s5, 0x3f7c1c5c
	v_mov_b32_e32 v45, v9
	v_mov_b32_e32 v31, v5
	;; [unrolled: 1-line block ×3, first 2 shown]
	v_pk_fma_f32 v[6:7], v[14:15], v[26:27], v[42:43] op_sel:[0,0,1] op_sel_hi:[1,1,0]
	v_pk_fma_f32 v[14:15], v[14:15], v[26:27], v[42:43] op_sel:[0,0,1] op_sel_hi:[1,0,0] neg_lo:[1,0,0] neg_hi:[1,0,0]
	v_pk_add_f32 v[2:3], v[2:3], v[12:13] neg_lo:[0,1] neg_hi:[0,1]
	v_mov_b32_e32 v4, v5
	v_mov_b32_e32 v5, v28
	;; [unrolled: 1-line block ×4, first 2 shown]
	s_mov_b32 s14, s5
	s_mov_b32 s15, s4
	v_mov_b32_e32 v7, v15
	v_pk_add_f32 v[14:15], v[10:11], v[28:29]
	v_pk_add_f32 v[4:5], v[4:5], v[8:9] neg_lo:[0,1] neg_hi:[0,1]
	v_pk_add_f32 v[10:11], v[18:19], v[20:21] neg_lo:[0,1] neg_hi:[0,1]
	s_mov_b32 s2, 0x3f5db3d7
	v_pk_mul_f32 v[12:13], v[2:3], s[14:15]
	v_pk_add_f32 v[8:9], v[6:7], v[22:23] neg_lo:[0,1] neg_hi:[0,1]
	v_pk_mul_f32 v[10:11], v[10:11], s[2:3] op_sel_hi:[1,0]
	v_pk_fma_f32 v[12:13], v[4:5], s[4:5], v[12:13]
	s_mov_b32 s14, 0x3eaf1d44
	v_pk_add_f32 v[16:17], v[20:21], v[18:19]
	v_pk_add_f32 v[24:25], v[44:45], v[30:31]
	v_pk_add_f32 v[12:13], v[10:11], v[12:13] op_sel:[1,0] op_sel_hi:[0,1]
	v_pk_mul_f32 v[18:19], v[8:9], s[14:15] op_sel_hi:[1,0]
	s_mov_b32 s20, 0x3f441b7d
	v_pk_add_f32 v[26:27], v[14:15], v[24:25]
	v_pk_add_f32 v[12:13], v[18:19], v[12:13] op_sel:[1,0] op_sel_hi:[0,1]
	s_mov_b32 s18, 0x3e31d0d4
	v_pk_fma_f32 v[18:19], v[24:25], s[20:21], v[0:1] op_sel_hi:[1,0,1]
	v_pk_add_f32 v[32:33], v[16:17], v[26:27]
	v_pk_fma_f32 v[18:19], v[14:15], s[18:19], v[18:19] op_sel_hi:[1,0,1]
	v_pk_add_f32 v[32:33], v[6:7], v[32:33]
	v_pk_add_f32 v[6:7], v[22:23], v[6:7]
	v_pk_fma_f32 v[18:19], v[16:17], 0.5, v[18:19] op_sel_hi:[1,0,1] neg_lo:[1,0,0] neg_hi:[1,0,0]
	s_mov_b32 s22, 0x3f708fb2
	v_pk_fma_f32 v[18:19], v[6:7], s[22:23], v[18:19] op_sel_hi:[1,0,1] neg_lo:[1,0,0] neg_hi:[1,0,0]
	v_pk_add_f32 v[32:33], v[22:23], v[32:33]
	v_pk_add_f32 v[20:21], v[18:19], v[12:13] neg_lo:[0,1] neg_hi:[0,1]
	v_pk_add_f32 v[18:19], v[18:19], v[12:13]
	v_pk_add_f32 v[32:33], v[0:1], v[32:33]
	v_mov_b32_e32 v21, v19
	v_fma_f32 v23, -2.0, v13, v19
	v_mov_b32_e32 v22, v20
	ds_write2_b64 v50, v[32:33], v[20:21] offset1:77
	v_mov_b32_e32 v18, v4
	v_mov_b32_e32 v19, v3
	s_mov_b32 s24, s5
	v_pk_mul_f32 v[20:21], v[8:9], s[4:5] op_sel_hi:[1,0]
	v_pk_fma_f32 v[28:29], v[6:7], s[20:21], v[0:1] op_sel_hi:[1,0,1]
	v_pk_fma_f32 v[20:21], v[18:19], s[24:25], v[20:21] op_sel:[0,0,1] op_sel_hi:[1,0,0] neg_lo:[0,0,1] neg_hi:[0,0,1]
	v_pk_fma_f32 v[28:29], v[24:25], s[18:19], v[28:29] op_sel_hi:[1,0,1]
	v_fmac_f32_e32 v22, 2.0, v12
	v_mov_b32_e32 v12, v2
	v_mov_b32_e32 v13, v5
	v_pk_add_f32 v[20:21], v[20:21], v[10:11] op_sel:[0,1] op_sel_hi:[1,0] neg_lo:[0,1] neg_hi:[0,1]
	v_pk_fma_f32 v[28:29], v[16:17], 0.5, v[28:29] op_sel_hi:[1,0,1] neg_lo:[1,0,0] neg_hi:[1,0,0]
	v_pk_fma_f32 v[20:21], v[12:13], s[14:15], v[20:21] op_sel_hi:[1,0,1]
	v_pk_fma_f32 v[28:29], v[14:15], s[22:23], v[28:29] op_sel_hi:[1,0,1] neg_lo:[1,0,0] neg_hi:[1,0,0]
	s_nop 0
	v_pk_add_f32 v[30:31], v[28:29], v[20:21] neg_lo:[0,1] neg_hi:[0,1]
	v_pk_add_f32 v[28:29], v[28:29], v[20:21]
	v_mov_b32_e32 v32, v30
	v_fma_f32 v33, -2.0, v21, v29
	v_mov_b32_e32 v31, v29
	v_mov_b32_e32 v28, v3
	;; [unrolled: 1-line block ×3, first 2 shown]
	v_pk_add_f32 v[28:29], v[8:9], v[28:29]
	v_mov_b32_e32 v4, v5
	v_mov_b32_e32 v5, v2
	v_fmac_f32_e32 v32, 2.0, v20
	v_pk_add_f32 v[20:21], v[16:17], v[0:1]
	v_pk_add_f32 v[2:3], v[28:29], v[4:5] neg_lo:[0,1] neg_hi:[0,1]
	v_pk_add_f32 v[4:5], v[6:7], v[26:27]
	v_pk_mul_f32 v[2:3], v[2:3], s[2:3] op_sel_hi:[1,0]
	v_pk_fma_f32 v[4:5], v[4:5], 0.5, v[20:21] op_sel_hi:[1,0,1] neg_lo:[1,0,0] neg_hi:[1,0,0]
	v_pk_fma_f32 v[0:1], v[14:15], s[20:21], v[0:1] op_sel_hi:[1,0,1]
	v_pk_add_f32 v[20:21], v[4:5], v[2:3] op_sel:[0,1] op_sel_hi:[1,0] neg_lo:[0,1] neg_hi:[0,1]
	v_pk_add_f32 v[4:5], v[4:5], v[2:3] op_sel:[0,1] op_sel_hi:[1,0]
	v_mov_b32_e32 v26, v20
	v_fma_f32 v27, -2.0, v2, v5
	v_fmac_f32_e32 v26, 2.0, v3
	s_mov_b32 s2, 0xbf248dbb
	v_pk_mul_f32 v[2:3], v[8:9], s[24:25] op_sel_hi:[1,0]
	v_pk_fma_f32 v[0:1], v[6:7], s[18:19], v[0:1] op_sel_hi:[1,0,1]
	v_pk_fma_f32 v[2:3], v[12:13], s[2:3], v[2:3] op_sel:[0,0,1] op_sel_hi:[1,0,0] neg_lo:[0,0,1] neg_hi:[0,0,1]
	v_pk_fma_f32 v[0:1], v[16:17], 0.5, v[0:1] op_sel_hi:[1,0,1] neg_lo:[1,0,0] neg_hi:[1,0,0]
	v_pk_add_f32 v[2:3], v[10:11], v[2:3] op_sel:[1,0] op_sel_hi:[0,1]
	v_pk_fma_f32 v[2:3], v[18:19], s[14:15], v[2:3] op_sel_hi:[1,0,1]
	v_pk_fma_f32 v[0:1], v[24:25], s[22:23], v[0:1] op_sel_hi:[1,0,1] neg_lo:[1,0,0] neg_hi:[1,0,0]
	v_mov_b32_e32 v21, v5
	v_pk_add_f32 v[4:5], v[0:1], v[2:3] neg_lo:[0,1] neg_hi:[0,1]
	v_pk_add_f32 v[0:1], v[0:1], v[2:3]
	v_mov_b32_e32 v6, v4
	v_fma_f32 v7, -2.0, v3, v1
	v_mov_b32_e32 v5, v1
	v_fmac_f32_e32 v6, 2.0, v2
	v_add_u32_e32 v0, 0x800, v50
	ds_write2_b64 v0, v[4:5], v[6:7] offset0:52 offset1:129
	v_add_u32_e32 v0, 0xc00, v50
	ds_write2_b64 v50, v[30:31], v[20:21] offset0:154 offset1:231
	ds_write2_b64 v0, v[26:27], v[32:33] offset0:78 offset1:155
	ds_write_b64 v50, v[22:23] offset:4928
.LBB0_21:
	s_or_b64 exec, exec, s[0:1]
	s_waitcnt lgkmcnt(0)
	s_barrier
	s_and_b64 exec, exec, s[6:7]
	s_cbranch_execz .LBB0_23
; %bb.22:
	global_load_dwordx2 v[8:9], v50, s[12:13]
	global_load_dwordx2 v[10:11], v50, s[12:13] offset:504
	global_load_dwordx2 v[12:13], v50, s[12:13] offset:1008
	;; [unrolled: 1-line block ×3, first 2 shown]
	ds_read_b64 v[16:17], v50
	global_load_dwordx2 v[22:23], v50, s[12:13] offset:2016
	ds_read2_b64 v[0:3], v50 offset0:63 offset1:126
	ds_read2_b64 v[4:7], v50 offset0:189 offset1:252
	global_load_dwordx2 v[26:27], v50, s[12:13] offset:2520
	global_load_dwordx2 v[28:29], v50, s[12:13] offset:3024
	global_load_dwordx2 v[30:31], v50, s[12:13] offset:3528
	global_load_dwordx2 v[32:33], v50, s[12:13] offset:4032
	v_mad_u64_u32 v[20:21], s[0:1], s10, v52, 0
	v_mad_u64_u32 v[24:25], s[2:3], s8, v53, 0
	v_mov_b32_e32 v34, v21
	v_mov_b32_e32 v38, v25
	v_mad_u64_u32 v[34:35], s[4:5], s11, v52, v[34:35]
	v_mov_b32_e32 v18, s16
	v_mov_b32_e32 v19, s17
	v_mad_u64_u32 v[38:39], s[4:5], s9, v53, v[38:39]
	v_mov_b32_e32 v21, v34
	v_mov_b32_e32 v25, v38
	v_lshl_add_u64 v[18:19], v[20:21], 3, v[18:19]
	s_mov_b32 s0, 0x5e918c
	v_mov_b32_e32 v40, 0x1f8
	v_lshl_add_u64 v[18:19], v[24:25], 3, v[18:19]
	s_mov_b32 s1, 0x3f57a463
	s_mul_i32 s2, s9, 0x1f8
	v_mad_u64_u32 v[20:21], s[4:5], s8, v40, v[18:19]
	v_mov_b32_e32 v51, 0
	v_add_u32_e32 v21, s2, v21
	s_movk_i32 s3, 0x1000
	v_lshl_add_u64 v[36:37], s[12:13], 0, v[50:51]
	v_mad_u64_u32 v[24:25], s[4:5], s8, v40, v[20:21]
	v_add_u32_e32 v25, s2, v25
	s_waitcnt vmcnt(8) lgkmcnt(2)
	v_mul_f32_e32 v34, v17, v9
	v_mul_f32_e32 v9, v16, v9
	s_waitcnt vmcnt(7) lgkmcnt(1)
	v_mul_f32_e32 v35, v1, v11
	v_mul_f32_e32 v11, v0, v11
	s_waitcnt vmcnt(6)
	v_mul_f32_e32 v38, v3, v13
	v_mul_f32_e32 v13, v2, v13
	s_waitcnt vmcnt(5) lgkmcnt(0)
	v_mul_f32_e32 v39, v5, v15
	v_mul_f32_e32 v15, v4, v15
	v_fmac_f32_e32 v34, v16, v8
	v_fma_f32 v8, v8, v17, -v9
	v_fmac_f32_e32 v35, v0, v10
	v_fma_f32 v9, v10, v1, -v11
	;; [unrolled: 2-line block ×4, first 2 shown]
	v_cvt_f64_f32_e32 v[0:1], v34
	v_cvt_f64_f32_e32 v[2:3], v8
	;; [unrolled: 1-line block ×6, first 2 shown]
	v_mul_f64 v[0:1], v[0:1], s[0:1]
	v_mul_f64 v[2:3], v[2:3], s[0:1]
	;; [unrolled: 1-line block ×6, first 2 shown]
	v_cvt_f32_f64_e32 v0, v[0:1]
	v_cvt_f32_f64_e32 v1, v[2:3]
	;; [unrolled: 1-line block ×6, first 2 shown]
	global_store_dwordx2 v[18:19], v[0:1], off
	global_store_dwordx2 v[20:21], v[2:3], off
	;; [unrolled: 1-line block ×3, first 2 shown]
	v_add_co_u32_e32 v0, vcc, s3, v36
	s_waitcnt vmcnt(7)
	v_mul_f32_e32 v2, v7, v23
	v_cvt_f64_f32_e32 v[14:15], v39
	v_cvt_f64_f32_e32 v[16:17], v16
	v_addc_co_u32_e32 v1, vcc, 0, v37, vcc
	v_fmac_f32_e32 v2, v6, v22
	v_mul_f64 v[14:15], v[14:15], s[0:1]
	v_mul_f64 v[16:17], v[16:17], s[0:1]
	global_load_dwordx2 v[4:5], v[0:1], off offset:440
	v_mad_u64_u32 v[10:11], s[4:5], s8, v40, v[24:25]
	v_cvt_f64_f32_e32 v[2:3], v2
	v_cvt_f32_f64_e32 v8, v[14:15]
	v_cvt_f32_f64_e32 v9, v[16:17]
	v_add_u32_e32 v11, s2, v11
	v_mul_f64 v[2:3], v[2:3], s[0:1]
	global_store_dwordx2 v[10:11], v[8:9], off
	v_cvt_f32_f64_e32 v8, v[2:3]
	v_mul_f32_e32 v2, v6, v23
	v_fma_f32 v2, v22, v7, -v2
	global_load_dwordx2 v[6:7], v[0:1], off offset:944
	v_cvt_f64_f32_e32 v[2:3], v2
	v_mul_f64 v[2:3], v[2:3], s[0:1]
	v_add_u32_e32 v12, 0x800, v50
	v_cvt_f32_f64_e32 v9, v[2:3]
	ds_read2_b64 v[0:3], v12 offset0:59 offset1:122
	v_mad_u64_u32 v[10:11], s[4:5], s8, v40, v[10:11]
	v_add_u32_e32 v11, s2, v11
	global_store_dwordx2 v[10:11], v[8:9], off
	s_waitcnt vmcnt(10) lgkmcnt(0)
	v_mul_f32_e32 v8, v1, v27
	v_fmac_f32_e32 v8, v0, v26
	v_mul_f32_e32 v0, v0, v27
	v_fma_f32 v0, v26, v1, -v0
	v_cvt_f64_f32_e32 v[8:9], v8
	v_cvt_f64_f32_e32 v[0:1], v0
	v_mul_f64 v[8:9], v[8:9], s[0:1]
	v_mul_f64 v[0:1], v[0:1], s[0:1]
	v_cvt_f32_f64_e32 v8, v[8:9]
	v_cvt_f32_f64_e32 v9, v[0:1]
	s_waitcnt vmcnt(9)
	v_mul_f32_e32 v0, v3, v29
	v_fmac_f32_e32 v0, v2, v28
	v_mad_u64_u32 v[10:11], s[4:5], s8, v40, v[10:11]
	v_cvt_f64_f32_e32 v[0:1], v0
	v_add_u32_e32 v11, s2, v11
	v_mul_f64 v[0:1], v[0:1], s[0:1]
	global_store_dwordx2 v[10:11], v[8:9], off
	v_cvt_f32_f64_e32 v8, v[0:1]
	v_mul_f32_e32 v0, v2, v29
	v_fma_f32 v0, v28, v3, -v0
	v_cvt_f64_f32_e32 v[0:1], v0
	v_mul_f64 v[0:1], v[0:1], s[0:1]
	v_cvt_f32_f64_e32 v9, v[0:1]
	ds_read2_b64 v[0:3], v12 offset0:185 offset1:248
	v_mad_u64_u32 v[10:11], s[4:5], s8, v40, v[10:11]
	v_add_u32_e32 v11, s2, v11
	global_store_dwordx2 v[10:11], v[8:9], off
	s_waitcnt vmcnt(10) lgkmcnt(0)
	v_mul_f32_e32 v8, v1, v31
	v_fmac_f32_e32 v8, v0, v30
	v_mul_f32_e32 v0, v0, v31
	v_fma_f32 v0, v30, v1, -v0
	v_cvt_f64_f32_e32 v[8:9], v8
	v_cvt_f64_f32_e32 v[0:1], v0
	v_mul_f64 v[8:9], v[8:9], s[0:1]
	v_mul_f64 v[0:1], v[0:1], s[0:1]
	v_cvt_f32_f64_e32 v8, v[8:9]
	v_cvt_f32_f64_e32 v9, v[0:1]
	s_waitcnt vmcnt(9)
	v_mul_f32_e32 v0, v3, v33
	v_fmac_f32_e32 v0, v2, v32
	v_mad_u64_u32 v[10:11], s[4:5], s8, v40, v[10:11]
	v_cvt_f64_f32_e32 v[0:1], v0
	v_add_u32_e32 v11, s2, v11
	v_mul_f64 v[0:1], v[0:1], s[0:1]
	global_store_dwordx2 v[10:11], v[8:9], off
	v_cvt_f32_f64_e32 v8, v[0:1]
	v_mul_f32_e32 v0, v2, v33
	v_fma_f32 v0, v32, v3, -v0
	v_cvt_f64_f32_e32 v[0:1], v0
	v_mul_f64 v[0:1], v[0:1], s[0:1]
	v_cvt_f32_f64_e32 v9, v[0:1]
	v_add_u32_e32 v0, 0x1000, v50
	ds_read2_b64 v[0:3], v0 offset0:55 offset1:118
	v_mad_u64_u32 v[10:11], s[4:5], s8, v40, v[10:11]
	v_add_u32_e32 v11, s2, v11
	global_store_dwordx2 v[10:11], v[8:9], off
	s_waitcnt vmcnt(7) lgkmcnt(0)
	v_mul_f32_e32 v8, v1, v5
	v_fmac_f32_e32 v8, v0, v4
	v_mul_f32_e32 v0, v0, v5
	v_fma_f32 v0, v4, v1, -v0
	v_cvt_f64_f32_e32 v[8:9], v8
	v_cvt_f64_f32_e32 v[0:1], v0
	v_mul_f64 v[8:9], v[8:9], s[0:1]
	v_mul_f64 v[0:1], v[0:1], s[0:1]
	v_cvt_f32_f64_e32 v8, v[8:9]
	v_cvt_f32_f64_e32 v9, v[0:1]
	v_mad_u64_u32 v[0:1], s[4:5], s8, v40, v[10:11]
	s_waitcnt vmcnt(5)
	v_mul_f32_e32 v4, v3, v7
	v_fmac_f32_e32 v4, v2, v6
	v_mul_f32_e32 v2, v2, v7
	v_fma_f32 v2, v6, v3, -v2
	v_add_u32_e32 v1, s2, v1
	v_cvt_f64_f32_e32 v[4:5], v4
	v_cvt_f64_f32_e32 v[2:3], v2
	global_store_dwordx2 v[0:1], v[8:9], off
	v_mul_f64 v[4:5], v[4:5], s[0:1]
	v_mul_f64 v[2:3], v[2:3], s[0:1]
	v_mad_u64_u32 v[0:1], s[0:1], s8, v40, v[0:1]
	v_cvt_f32_f64_e32 v4, v[4:5]
	v_cvt_f32_f64_e32 v5, v[2:3]
	v_add_u32_e32 v1, s2, v1
	global_store_dwordx2 v[0:1], v[4:5], off
.LBB0_23:
	s_endpgm
	.section	.rodata,"a",@progbits
	.p2align	6, 0x0
	.amdhsa_kernel bluestein_single_back_len693_dim1_sp_op_CI_CI
		.amdhsa_group_segment_fixed_size 5544
		.amdhsa_private_segment_fixed_size 0
		.amdhsa_kernarg_size 104
		.amdhsa_user_sgpr_count 2
		.amdhsa_user_sgpr_dispatch_ptr 0
		.amdhsa_user_sgpr_queue_ptr 0
		.amdhsa_user_sgpr_kernarg_segment_ptr 1
		.amdhsa_user_sgpr_dispatch_id 0
		.amdhsa_user_sgpr_kernarg_preload_length 0
		.amdhsa_user_sgpr_kernarg_preload_offset 0
		.amdhsa_user_sgpr_private_segment_size 0
		.amdhsa_uses_dynamic_stack 0
		.amdhsa_enable_private_segment 0
		.amdhsa_system_sgpr_workgroup_id_x 1
		.amdhsa_system_sgpr_workgroup_id_y 0
		.amdhsa_system_sgpr_workgroup_id_z 0
		.amdhsa_system_sgpr_workgroup_info 0
		.amdhsa_system_vgpr_workitem_id 0
		.amdhsa_next_free_vgpr 146
		.amdhsa_next_free_sgpr 50
		.amdhsa_accum_offset 148
		.amdhsa_reserve_vcc 1
		.amdhsa_float_round_mode_32 0
		.amdhsa_float_round_mode_16_64 0
		.amdhsa_float_denorm_mode_32 3
		.amdhsa_float_denorm_mode_16_64 3
		.amdhsa_dx10_clamp 1
		.amdhsa_ieee_mode 1
		.amdhsa_fp16_overflow 0
		.amdhsa_tg_split 0
		.amdhsa_exception_fp_ieee_invalid_op 0
		.amdhsa_exception_fp_denorm_src 0
		.amdhsa_exception_fp_ieee_div_zero 0
		.amdhsa_exception_fp_ieee_overflow 0
		.amdhsa_exception_fp_ieee_underflow 0
		.amdhsa_exception_fp_ieee_inexact 0
		.amdhsa_exception_int_div_zero 0
	.end_amdhsa_kernel
	.text
.Lfunc_end0:
	.size	bluestein_single_back_len693_dim1_sp_op_CI_CI, .Lfunc_end0-bluestein_single_back_len693_dim1_sp_op_CI_CI
                                        ; -- End function
	.section	.AMDGPU.csdata,"",@progbits
; Kernel info:
; codeLenInByte = 10956
; NumSgprs: 56
; NumVgprs: 146
; NumAgprs: 0
; TotalNumVgprs: 146
; ScratchSize: 0
; MemoryBound: 0
; FloatMode: 240
; IeeeMode: 1
; LDSByteSize: 5544 bytes/workgroup (compile time only)
; SGPRBlocks: 6
; VGPRBlocks: 18
; NumSGPRsForWavesPerEU: 56
; NumVGPRsForWavesPerEU: 146
; AccumOffset: 148
; Occupancy: 3
; WaveLimiterHint : 1
; COMPUTE_PGM_RSRC2:SCRATCH_EN: 0
; COMPUTE_PGM_RSRC2:USER_SGPR: 2
; COMPUTE_PGM_RSRC2:TRAP_HANDLER: 0
; COMPUTE_PGM_RSRC2:TGID_X_EN: 1
; COMPUTE_PGM_RSRC2:TGID_Y_EN: 0
; COMPUTE_PGM_RSRC2:TGID_Z_EN: 0
; COMPUTE_PGM_RSRC2:TIDIG_COMP_CNT: 0
; COMPUTE_PGM_RSRC3_GFX90A:ACCUM_OFFSET: 36
; COMPUTE_PGM_RSRC3_GFX90A:TG_SPLIT: 0
	.text
	.p2alignl 6, 3212836864
	.fill 256, 4, 3212836864
	.type	__hip_cuid_d857e70830461af,@object ; @__hip_cuid_d857e70830461af
	.section	.bss,"aw",@nobits
	.globl	__hip_cuid_d857e70830461af
__hip_cuid_d857e70830461af:
	.byte	0                               ; 0x0
	.size	__hip_cuid_d857e70830461af, 1

	.ident	"AMD clang version 19.0.0git (https://github.com/RadeonOpenCompute/llvm-project roc-6.4.0 25133 c7fe45cf4b819c5991fe208aaa96edf142730f1d)"
	.section	".note.GNU-stack","",@progbits
	.addrsig
	.addrsig_sym __hip_cuid_d857e70830461af
	.amdgpu_metadata
---
amdhsa.kernels:
  - .agpr_count:     0
    .args:
      - .actual_access:  read_only
        .address_space:  global
        .offset:         0
        .size:           8
        .value_kind:     global_buffer
      - .actual_access:  read_only
        .address_space:  global
        .offset:         8
        .size:           8
        .value_kind:     global_buffer
      - .actual_access:  read_only
        .address_space:  global
        .offset:         16
        .size:           8
        .value_kind:     global_buffer
      - .actual_access:  read_only
        .address_space:  global
        .offset:         24
        .size:           8
        .value_kind:     global_buffer
      - .actual_access:  read_only
        .address_space:  global
        .offset:         32
        .size:           8
        .value_kind:     global_buffer
      - .offset:         40
        .size:           8
        .value_kind:     by_value
      - .address_space:  global
        .offset:         48
        .size:           8
        .value_kind:     global_buffer
      - .address_space:  global
        .offset:         56
        .size:           8
        .value_kind:     global_buffer
      - .address_space:  global
        .offset:         64
        .size:           8
        .value_kind:     global_buffer
      - .address_space:  global
        .offset:         72
        .size:           8
        .value_kind:     global_buffer
      - .offset:         80
        .size:           4
        .value_kind:     by_value
      - .address_space:  global
        .offset:         88
        .size:           8
        .value_kind:     global_buffer
      - .address_space:  global
        .offset:         96
        .size:           8
        .value_kind:     global_buffer
    .group_segment_fixed_size: 5544
    .kernarg_segment_align: 8
    .kernarg_segment_size: 104
    .language:       OpenCL C
    .language_version:
      - 2
      - 0
    .max_flat_workgroup_size: 99
    .name:           bluestein_single_back_len693_dim1_sp_op_CI_CI
    .private_segment_fixed_size: 0
    .sgpr_count:     56
    .sgpr_spill_count: 0
    .symbol:         bluestein_single_back_len693_dim1_sp_op_CI_CI.kd
    .uniform_work_group_size: 1
    .uses_dynamic_stack: false
    .vgpr_count:     146
    .vgpr_spill_count: 0
    .wavefront_size: 64
amdhsa.target:   amdgcn-amd-amdhsa--gfx950
amdhsa.version:
  - 1
  - 2
...

	.end_amdgpu_metadata
